;; amdgpu-corpus repo=ROCm/rocSPARSE kind=compiled arch=gfx90a opt=O3
	.text
	.amdgcn_target "amdgcn-amd-amdhsa--gfx90a"
	.amdhsa_code_object_version 6
	.section	.text._ZN9rocsparseL14nnz_kernel_rowILi64ELi16EiiDF16_EEv16rocsparse_order_T2_S2_PKT3_lPT1_,"axG",@progbits,_ZN9rocsparseL14nnz_kernel_rowILi64ELi16EiiDF16_EEv16rocsparse_order_T2_S2_PKT3_lPT1_,comdat
	.globl	_ZN9rocsparseL14nnz_kernel_rowILi64ELi16EiiDF16_EEv16rocsparse_order_T2_S2_PKT3_lPT1_ ; -- Begin function _ZN9rocsparseL14nnz_kernel_rowILi64ELi16EiiDF16_EEv16rocsparse_order_T2_S2_PKT3_lPT1_
	.p2align	8
	.type	_ZN9rocsparseL14nnz_kernel_rowILi64ELi16EiiDF16_EEv16rocsparse_order_T2_S2_PKT3_lPT1_,@function
_ZN9rocsparseL14nnz_kernel_rowILi64ELi16EiiDF16_EEv16rocsparse_order_T2_S2_PKT3_lPT1_: ; @_ZN9rocsparseL14nnz_kernel_rowILi64ELi16EiiDF16_EEv16rocsparse_order_T2_S2_PKT3_lPT1_
; %bb.0:
	s_load_dword s0, s[4:5], 0x34
	s_load_dwordx2 s[20:21], s[4:5], 0x20
	s_load_dwordx8 s[12:19], s[4:5], 0x0
	v_and_b32_e32 v1, 0x3ff, v0
	v_bfe_u32 v0, v0, 10, 10
	s_waitcnt lgkmcnt(0)
	s_and_b32 s0, s0, 0xffff
	v_mad_u32_u24 v25, v0, s0, v1
	s_ashr_i32 s0, s14, 31
	s_lshr_b32 s0, s0, 26
	s_mov_b32 s8, 0
	v_and_b32_e32 v27, 63, v25
	s_lshl_b32 s15, s6, 8
	s_add_i32 s33, s14, s0
	v_lshrrev_b32_e32 v0, 4, v25
	s_mov_b32 s9, s8
	v_or_b32_e32 v10, s15, v27
	s_andn2_b32 s33, s33, 63
	v_and_b32_e32 v8, 0x7ffffc, v0
	s_mov_b32 s10, s8
	s_mov_b32 s11, s8
	v_pk_mov_b32 v[0:1], s[8:9], s[8:9] op_sel:[0,1]
	v_cmp_gt_i32_e32 vcc, s33, v8
	v_pk_mov_b32 v[2:3], s[10:11], s[10:11] op_sel:[0,1]
	v_or_b32_e32 v28, 64, v10
	s_and_saveexec_b64 s[22:23], vcc
	s_cbranch_execz .LBB0_28
; %bb.1:
	v_or_b32_e32 v0, 0x80, v10
	v_cmp_gt_i32_e64 s[4:5], s13, v0
	v_or_b32_e32 v0, 0xc0, v10
	v_cmp_gt_i32_e64 s[6:7], s13, v0
	v_add_u32_e32 v0, s15, v27
	v_ashrrev_i32_e32 v1, 31, v0
	v_mul_lo_u32 v4, s18, v1
	v_mul_lo_u32 v5, s19, v0
	v_mad_u64_u32 v[2:3], s[26:27], s18, v0, 0
	v_add3_u32 v3, v3, v4, v5
	v_lshrrev_b32_e32 v23, 6, v25
	v_lshlrev_b64 v[2:3], 1, v[2:3]
	v_lshlrev_b32_e32 v21, 3, v23
	v_lshlrev_b32_e32 v19, 2, v23
	v_add_co_u32_e32 v12, vcc, v2, v21
	v_or_b32_e32 v5, 3, v19
	v_addc_co_u32_e32 v9, vcc, 0, v3, vcc
	v_mad_u64_u32 v[2:3], s[26:27], s18, v5, 0
	v_mov_b32_e32 v4, v3
	v_mad_u64_u32 v[4:5], s[26:27], s19, v5, v[4:5]
	v_mov_b32_e32 v3, v4
	v_lshlrev_b64 v[2:3], 1, v[2:3]
	v_lshlrev_b64 v[4:5], 1, v[0:1]
	v_add_u32_e32 v1, 64, v0
	v_add_co_u32_e32 v14, vcc, v2, v4
	v_ashrrev_i32_e32 v2, 31, v1
	v_addc_co_u32_e32 v11, vcc, v3, v5, vcc
	v_mul_lo_u32 v6, s18, v2
	v_mul_lo_u32 v7, s19, v1
	v_mad_u64_u32 v[2:3], s[28:29], s18, v1, 0
	v_add3_u32 v3, v3, v6, v7
	v_lshlrev_b64 v[2:3], 1, v[2:3]
	v_add_co_u32_e32 v16, vcc, v2, v21
	v_or_b32_e32 v1, 2, v19
	v_addc_co_u32_e32 v13, vcc, 0, v3, vcc
	v_mad_u64_u32 v[2:3], s[28:29], s18, v1, 0
	v_mov_b32_e32 v6, v3
	v_mad_u64_u32 v[6:7], s[28:29], s19, v1, v[6:7]
	v_mov_b32_e32 v3, v6
	v_lshlrev_b64 v[2:3], 1, v[2:3]
	v_add_u32_e32 v1, 0x80, v0
	v_add_co_u32_e32 v18, vcc, v2, v4
	v_ashrrev_i32_e32 v2, 31, v1
	v_addc_co_u32_e32 v15, vcc, v3, v5, vcc
	v_mul_lo_u32 v6, s18, v2
	v_mul_lo_u32 v7, s19, v1
	v_mad_u64_u32 v[2:3], s[28:29], s18, v1, 0
	v_add3_u32 v3, v3, v6, v7
	v_lshlrev_b64 v[2:3], 1, v[2:3]
	v_add_co_u32_e32 v20, vcc, v2, v21
	v_addc_co_u32_e32 v17, vcc, 0, v3, vcc
	v_pk_mov_b32 v[2:3], s[18:19], s[18:19] op_sel:[0,1]
	v_mad_u64_u32 v[2:3], s[28:29], s18, v19, v[2:3]
	v_mov_b32_e32 v6, v3
	v_mad_u64_u32 v[6:7], s[28:29], s19, v19, v[6:7]
	v_mov_b32_e32 v3, v6
	v_lshlrev_b64 v[2:3], 1, v[2:3]
	v_add_u32_e32 v0, 0xc0, v0
	v_add_co_u32_e32 v22, vcc, v2, v4
	v_ashrrev_i32_e32 v1, 31, v0
	v_addc_co_u32_e32 v19, vcc, v3, v5, vcc
	v_mul_lo_u32 v2, s18, v1
	v_mul_lo_u32 v3, s19, v0
	v_mad_u64_u32 v[0:1], s[28:29], s18, v0, 0
	v_add3_u32 v1, v1, v2, v3
	v_lshlrev_b64 v[0:1], 1, v[0:1]
	v_add_co_u32_e32 v24, vcc, v0, v21
	v_addc_co_u32_e32 v21, vcc, 0, v1, vcc
	v_mad_u64_u32 v[0:1], s[28:29], s18, v23, 0
	v_mov_b32_e32 v2, v1
	v_mad_u64_u32 v[2:3], s[28:29], s19, v23, v[2:3]
	v_mov_b32_e32 v1, v2
	v_lshlrev_b64 v[0:1], 3, v[0:1]
	v_add_co_u32_e32 v26, vcc, v0, v4
	s_cmp_lg_u32 s12, 1
	v_addc_co_u32_e32 v23, vcc, v1, v5, vcc
	v_pk_mov_b32 v[0:1], s[8:9], s[8:9] op_sel:[0,1]
	s_cselect_b64 s[24:25], -1, 0
	v_cmp_gt_i32_e64 s[0:1], s13, v10
	v_cmp_gt_i32_e64 s[2:3], s13, v28
	s_lshl_b64 s[26:27], s[18:19], 7
	s_mov_b64 s[28:29], 0
	v_pk_mov_b32 v[2:3], s[10:11], s[10:11] op_sel:[0,1]
	v_mov_b32_e32 v29, 0
	s_branch .LBB0_4
.LBB0_2:                                ;   in Loop: Header=BB0_4 Depth=1
	v_pk_mov_b32 v[0:1], v[4:5], v[4:5] op_sel:[0,1]
	v_pk_mov_b32 v[2:3], v[6:7], v[6:7] op_sel:[0,1]
.LBB0_3:                                ;   in Loop: Header=BB0_4 Depth=1
	s_or_b64 exec, exec, s[10:11]
	v_add_co_u32_e32 v12, vcc, 0x80, v12
	v_addc_co_u32_e32 v9, vcc, 0, v9, vcc
	v_mov_b32_e32 v4, s27
	v_add_co_u32_e32 v14, vcc, s26, v14
	v_addc_co_u32_e32 v11, vcc, v11, v4, vcc
	v_add_co_u32_e32 v16, vcc, 0x80, v16
	v_addc_co_u32_e32 v13, vcc, 0, v13, vcc
	v_add_co_u32_e32 v18, vcc, s26, v18
	v_addc_co_u32_e32 v15, vcc, v15, v4, vcc
	v_add_co_u32_e32 v20, vcc, 0x80, v20
	v_addc_co_u32_e32 v17, vcc, 0, v17, vcc
	v_add_co_u32_e32 v22, vcc, s26, v22
	v_addc_co_u32_e32 v19, vcc, v19, v4, vcc
	v_add_co_u32_e32 v24, vcc, 0x80, v24
	v_add_u32_e32 v8, 64, v8
	v_addc_co_u32_e32 v21, vcc, 0, v21, vcc
	v_cmp_le_i32_e32 vcc, s33, v8
	s_or_b64 s[28:29], vcc, s[28:29]
	v_add_co_u32_e32 v26, vcc, s26, v26
	v_addc_co_u32_e32 v23, vcc, v23, v4, vcc
	s_andn2_b64 exec, exec, s[28:29]
	s_cbranch_execz .LBB0_27
.LBB0_4:                                ; =>This Inner Loop Header: Depth=1
	v_cndmask_b32_e64 v4, 0, 1, s[24:25]
	v_cmp_ne_u32_e64 s[8:9], 1, v4
	s_and_saveexec_b64 s[10:11], s[0:1]
	s_cbranch_execnz .LBB0_8
; %bb.5:                                ;   in Loop: Header=BB0_4 Depth=1
	s_or_b64 exec, exec, s[10:11]
	s_and_saveexec_b64 s[10:11], s[2:3]
	s_cbranch_execnz .LBB0_13
.LBB0_6:                                ;   in Loop: Header=BB0_4 Depth=1
	s_or_b64 exec, exec, s[10:11]
	s_and_saveexec_b64 s[10:11], s[4:5]
	s_cbranch_execnz .LBB0_18
.LBB0_7:                                ;   in Loop: Header=BB0_4 Depth=1
	s_or_b64 exec, exec, s[10:11]
	s_and_saveexec_b64 s[10:11], s[6:7]
	s_cbranch_execz .LBB0_3
	s_branch .LBB0_23
.LBB0_8:                                ;   in Loop: Header=BB0_4 Depth=1
	s_and_b64 vcc, exec, s[8:9]
	v_add_u32_e32 v30, 1, v0
	s_cbranch_vccnz .LBB0_10
; %bb.9:                                ;   in Loop: Header=BB0_4 Depth=1
	v_mov_b32_e32 v5, s17
	v_add_co_u32_e32 v4, vcc, s16, v12
	v_addc_co_u32_e32 v5, vcc, v5, v9, vcc
	global_load_dwordx2 v[32:33], v[4:5], off
	v_mov_b32_e32 v5, v1
	v_mov_b32_e32 v6, v2
	;; [unrolled: 1-line block ×3, first 2 shown]
	s_waitcnt vmcnt(0)
	v_cmp_neq_f16_e32 vcc, 0, v32
	v_cndmask_b32_e32 v4, v0, v30, vcc
	v_add_u32_e32 v31, 1, v4
	v_cmp_neq_f16_sdwa vcc, v32, v29 src0_sel:WORD_1 src1_sel:DWORD
	v_cndmask_b32_e32 v4, v4, v31, vcc
	v_add_u32_e32 v31, 1, v4
	v_cmp_neq_f16_e32 vcc, 0, v33
	v_cndmask_b32_e32 v4, v4, v31, vcc
	v_add_u32_e32 v31, 1, v4
	v_cmp_neq_f16_sdwa vcc, v33, v29 src0_sel:WORD_1 src1_sel:DWORD
	v_cndmask_b32_e32 v4, v4, v31, vcc
	s_cbranch_execz .LBB0_11
	s_branch .LBB0_12
.LBB0_10:                               ;   in Loop: Header=BB0_4 Depth=1
                                        ; implicit-def: $vgpr4_vgpr5_vgpr6_vgpr7
.LBB0_11:                               ;   in Loop: Header=BB0_4 Depth=1
	v_mov_b32_e32 v31, s17
	v_add_co_u32_e32 v4, vcc, s16, v26
	v_addc_co_u32_e32 v5, vcc, v31, v23, vcc
	global_load_ushort v32, v[4:5], off
	v_add_co_u32_e32 v4, vcc, s16, v22
	v_addc_co_u32_e32 v5, vcc, v31, v19, vcc
	v_add_co_u32_e32 v6, vcc, s16, v18
	v_addc_co_u32_e32 v7, vcc, v31, v15, vcc
	global_load_ushort v33, v[4:5], off
	global_load_ushort v34, v[6:7], off
	v_add_co_u32_e32 v4, vcc, s16, v14
	v_addc_co_u32_e32 v5, vcc, v31, v11, vcc
	global_load_ushort v4, v[4:5], off
	s_waitcnt vmcnt(3)
	v_cmp_neq_f16_e32 vcc, 0, v32
	v_cndmask_b32_e32 v0, v0, v30, vcc
	v_add_u32_e32 v5, 1, v0
	s_waitcnt vmcnt(2)
	v_cmp_neq_f16_e32 vcc, 0, v33
	v_cndmask_b32_e32 v0, v0, v5, vcc
	v_add_u32_e32 v5, 1, v0
	;; [unrolled: 4-line block ×3, first 2 shown]
	s_waitcnt vmcnt(0)
	v_cmp_neq_f16_e32 vcc, 0, v4
	v_cndmask_b32_e32 v0, v0, v5, vcc
	v_pk_mov_b32 v[6:7], v[2:3], v[2:3] op_sel:[0,1]
	v_pk_mov_b32 v[4:5], v[0:1], v[0:1] op_sel:[0,1]
.LBB0_12:                               ;   in Loop: Header=BB0_4 Depth=1
	v_pk_mov_b32 v[0:1], v[4:5], v[4:5] op_sel:[0,1]
	v_pk_mov_b32 v[2:3], v[6:7], v[6:7] op_sel:[0,1]
	s_or_b64 exec, exec, s[10:11]
	s_and_saveexec_b64 s[10:11], s[2:3]
	s_cbranch_execz .LBB0_6
.LBB0_13:                               ;   in Loop: Header=BB0_4 Depth=1
	s_and_b64 vcc, exec, s[8:9]
	v_add_u32_e32 v30, 1, v1
	s_cbranch_vccnz .LBB0_15
; %bb.14:                               ;   in Loop: Header=BB0_4 Depth=1
	v_mov_b32_e32 v5, s17
	v_add_co_u32_e32 v4, vcc, s16, v16
	v_addc_co_u32_e32 v5, vcc, v5, v13, vcc
	global_load_dwordx2 v[32:33], v[4:5], off
	v_mov_b32_e32 v4, v0
	v_mov_b32_e32 v6, v2
	;; [unrolled: 1-line block ×3, first 2 shown]
	s_waitcnt vmcnt(0)
	v_cmp_neq_f16_e32 vcc, 0, v32
	v_cndmask_b32_e32 v5, v1, v30, vcc
	v_add_u32_e32 v31, 1, v5
	v_cmp_neq_f16_sdwa vcc, v32, v29 src0_sel:WORD_1 src1_sel:DWORD
	v_cndmask_b32_e32 v5, v5, v31, vcc
	v_add_u32_e32 v31, 1, v5
	v_cmp_neq_f16_e32 vcc, 0, v33
	v_cndmask_b32_e32 v5, v5, v31, vcc
	v_add_u32_e32 v31, 1, v5
	v_cmp_neq_f16_sdwa vcc, v33, v29 src0_sel:WORD_1 src1_sel:DWORD
	v_cndmask_b32_e32 v5, v5, v31, vcc
	s_cbranch_execz .LBB0_16
	s_branch .LBB0_17
.LBB0_15:                               ;   in Loop: Header=BB0_4 Depth=1
                                        ; implicit-def: $vgpr4_vgpr5_vgpr6_vgpr7
.LBB0_16:                               ;   in Loop: Header=BB0_4 Depth=1
	v_mov_b32_e32 v31, s17
	v_add_co_u32_e32 v4, vcc, s16, v26
	v_addc_co_u32_e32 v5, vcc, v31, v23, vcc
	global_load_ushort v32, v[4:5], off offset:128
	v_add_co_u32_e32 v4, vcc, s16, v22
	v_addc_co_u32_e32 v5, vcc, v31, v19, vcc
	v_add_co_u32_e32 v6, vcc, s16, v18
	v_addc_co_u32_e32 v7, vcc, v31, v15, vcc
	global_load_ushort v33, v[4:5], off offset:128
	global_load_ushort v34, v[6:7], off offset:128
	v_add_co_u32_e32 v4, vcc, s16, v14
	v_addc_co_u32_e32 v5, vcc, v31, v11, vcc
	global_load_ushort v4, v[4:5], off offset:128
	s_waitcnt vmcnt(3)
	v_cmp_neq_f16_e32 vcc, 0, v32
	v_cndmask_b32_e32 v1, v1, v30, vcc
	v_add_u32_e32 v5, 1, v1
	s_waitcnt vmcnt(2)
	v_cmp_neq_f16_e32 vcc, 0, v33
	v_cndmask_b32_e32 v1, v1, v5, vcc
	v_add_u32_e32 v5, 1, v1
	;; [unrolled: 4-line block ×3, first 2 shown]
	s_waitcnt vmcnt(0)
	v_cmp_neq_f16_e32 vcc, 0, v4
	v_cndmask_b32_e32 v1, v1, v5, vcc
	v_pk_mov_b32 v[6:7], v[2:3], v[2:3] op_sel:[0,1]
	v_pk_mov_b32 v[4:5], v[0:1], v[0:1] op_sel:[0,1]
.LBB0_17:                               ;   in Loop: Header=BB0_4 Depth=1
	v_pk_mov_b32 v[0:1], v[4:5], v[4:5] op_sel:[0,1]
	v_pk_mov_b32 v[2:3], v[6:7], v[6:7] op_sel:[0,1]
	s_or_b64 exec, exec, s[10:11]
	s_and_saveexec_b64 s[10:11], s[4:5]
	s_cbranch_execz .LBB0_7
.LBB0_18:                               ;   in Loop: Header=BB0_4 Depth=1
	s_and_b64 vcc, exec, s[8:9]
	v_add_u32_e32 v30, 1, v2
	s_cbranch_vccnz .LBB0_20
; %bb.19:                               ;   in Loop: Header=BB0_4 Depth=1
	v_mov_b32_e32 v5, s17
	v_add_co_u32_e32 v4, vcc, s16, v20
	v_addc_co_u32_e32 v5, vcc, v5, v17, vcc
	global_load_dwordx2 v[32:33], v[4:5], off
	v_mov_b32_e32 v4, v0
	v_mov_b32_e32 v5, v1
	;; [unrolled: 1-line block ×3, first 2 shown]
	s_waitcnt vmcnt(0)
	v_cmp_neq_f16_e32 vcc, 0, v32
	v_cndmask_b32_e32 v6, v2, v30, vcc
	v_add_u32_e32 v31, 1, v6
	v_cmp_neq_f16_sdwa vcc, v32, v29 src0_sel:WORD_1 src1_sel:DWORD
	v_cndmask_b32_e32 v6, v6, v31, vcc
	v_add_u32_e32 v31, 1, v6
	v_cmp_neq_f16_e32 vcc, 0, v33
	v_cndmask_b32_e32 v6, v6, v31, vcc
	v_add_u32_e32 v31, 1, v6
	v_cmp_neq_f16_sdwa vcc, v33, v29 src0_sel:WORD_1 src1_sel:DWORD
	v_cndmask_b32_e32 v6, v6, v31, vcc
	s_cbranch_execz .LBB0_21
	s_branch .LBB0_22
.LBB0_20:                               ;   in Loop: Header=BB0_4 Depth=1
                                        ; implicit-def: $vgpr4_vgpr5_vgpr6_vgpr7
.LBB0_21:                               ;   in Loop: Header=BB0_4 Depth=1
	v_mov_b32_e32 v31, s17
	v_add_co_u32_e32 v4, vcc, s16, v26
	v_addc_co_u32_e32 v5, vcc, v31, v23, vcc
	global_load_ushort v32, v[4:5], off offset:256
	v_add_co_u32_e32 v4, vcc, s16, v22
	v_addc_co_u32_e32 v5, vcc, v31, v19, vcc
	v_add_co_u32_e32 v6, vcc, s16, v18
	v_addc_co_u32_e32 v7, vcc, v31, v15, vcc
	global_load_ushort v33, v[4:5], off offset:256
	global_load_ushort v34, v[6:7], off offset:256
	v_add_co_u32_e32 v4, vcc, s16, v14
	v_addc_co_u32_e32 v5, vcc, v31, v11, vcc
	global_load_ushort v4, v[4:5], off offset:256
	s_waitcnt vmcnt(3)
	v_cmp_neq_f16_e32 vcc, 0, v32
	v_cndmask_b32_e32 v2, v2, v30, vcc
	v_add_u32_e32 v5, 1, v2
	s_waitcnt vmcnt(2)
	v_cmp_neq_f16_e32 vcc, 0, v33
	v_cndmask_b32_e32 v2, v2, v5, vcc
	v_add_u32_e32 v5, 1, v2
	;; [unrolled: 4-line block ×3, first 2 shown]
	s_waitcnt vmcnt(0)
	v_cmp_neq_f16_e32 vcc, 0, v4
	v_cndmask_b32_e32 v2, v2, v5, vcc
	v_pk_mov_b32 v[6:7], v[2:3], v[2:3] op_sel:[0,1]
	v_pk_mov_b32 v[4:5], v[0:1], v[0:1] op_sel:[0,1]
.LBB0_22:                               ;   in Loop: Header=BB0_4 Depth=1
	v_pk_mov_b32 v[0:1], v[4:5], v[4:5] op_sel:[0,1]
	v_pk_mov_b32 v[2:3], v[6:7], v[6:7] op_sel:[0,1]
	s_or_b64 exec, exec, s[10:11]
	s_and_saveexec_b64 s[10:11], s[6:7]
	s_cbranch_execz .LBB0_3
.LBB0_23:                               ;   in Loop: Header=BB0_4 Depth=1
	s_and_b64 vcc, exec, s[8:9]
	v_add_u32_e32 v30, 1, v3
	s_cbranch_vccnz .LBB0_25
; %bb.24:                               ;   in Loop: Header=BB0_4 Depth=1
	v_mov_b32_e32 v5, s17
	v_add_co_u32_e32 v4, vcc, s16, v24
	v_addc_co_u32_e32 v5, vcc, v5, v21, vcc
	global_load_dwordx2 v[32:33], v[4:5], off
	v_mov_b32_e32 v4, v0
	v_mov_b32_e32 v5, v1
	;; [unrolled: 1-line block ×3, first 2 shown]
	s_waitcnt vmcnt(0)
	v_cmp_neq_f16_e32 vcc, 0, v32
	v_cndmask_b32_e32 v7, v3, v30, vcc
	v_add_u32_e32 v31, 1, v7
	v_cmp_neq_f16_sdwa vcc, v32, v29 src0_sel:WORD_1 src1_sel:DWORD
	v_cndmask_b32_e32 v7, v7, v31, vcc
	v_add_u32_e32 v31, 1, v7
	v_cmp_neq_f16_e32 vcc, 0, v33
	v_cndmask_b32_e32 v7, v7, v31, vcc
	v_add_u32_e32 v31, 1, v7
	v_cmp_neq_f16_sdwa vcc, v33, v29 src0_sel:WORD_1 src1_sel:DWORD
	v_cndmask_b32_e32 v7, v7, v31, vcc
	s_cbranch_execnz .LBB0_2
	s_branch .LBB0_26
.LBB0_25:                               ;   in Loop: Header=BB0_4 Depth=1
                                        ; implicit-def: $vgpr4_vgpr5_vgpr6_vgpr7
.LBB0_26:                               ;   in Loop: Header=BB0_4 Depth=1
	v_mov_b32_e32 v31, s17
	v_add_co_u32_e32 v4, vcc, s16, v26
	v_addc_co_u32_e32 v5, vcc, v31, v23, vcc
	global_load_ushort v32, v[4:5], off offset:384
	v_add_co_u32_e32 v4, vcc, s16, v22
	v_addc_co_u32_e32 v5, vcc, v31, v19, vcc
	v_add_co_u32_e32 v6, vcc, s16, v18
	v_addc_co_u32_e32 v7, vcc, v31, v15, vcc
	global_load_ushort v33, v[4:5], off offset:384
	global_load_ushort v34, v[6:7], off offset:384
	v_add_co_u32_e32 v4, vcc, s16, v14
	v_addc_co_u32_e32 v5, vcc, v31, v11, vcc
	global_load_ushort v4, v[4:5], off offset:384
	s_waitcnt vmcnt(3)
	v_cmp_neq_f16_e32 vcc, 0, v32
	v_cndmask_b32_e32 v3, v3, v30, vcc
	v_add_u32_e32 v5, 1, v3
	s_waitcnt vmcnt(2)
	v_cmp_neq_f16_e32 vcc, 0, v33
	v_cndmask_b32_e32 v3, v3, v5, vcc
	v_add_u32_e32 v5, 1, v3
	;; [unrolled: 4-line block ×3, first 2 shown]
	s_waitcnt vmcnt(0)
	v_cmp_neq_f16_e32 vcc, 0, v4
	v_cndmask_b32_e32 v3, v3, v5, vcc
	v_pk_mov_b32 v[6:7], v[2:3], v[2:3] op_sel:[0,1]
	v_pk_mov_b32 v[4:5], v[0:1], v[0:1] op_sel:[0,1]
	s_branch .LBB0_2
.LBB0_27:
	s_or_b64 exec, exec, s[28:29]
.LBB0_28:
	s_or_b64 exec, exec, s[22:23]
	s_sub_i32 s0, s14, s33
	s_cmp_lt_i32 s0, 1
	s_cbranch_scc1 .LBB0_126
; %bb.29:
	v_mov_b32_e32 v9, 0
	v_lshlrev_b64 v[4:5], 1, v[8:9]
	s_cmp_eq_u32 s12, 1
	v_mov_b32_e32 v6, s17
	v_add_co_u32_e32 v9, vcc, s16, v4
	s_cselect_b64 s[2:3], -1, 0
	s_cmp_lg_u32 s12, 1
	v_addc_co_u32_e32 v12, vcc, v6, v5, vcc
	s_cselect_b64 s[0:1], -1, 0
	v_cmp_gt_i32_e32 vcc, s13, v10
	v_ashrrev_i32_e32 v11, 31, v10
	s_and_saveexec_b64 s[4:5], vcc
	s_cbranch_execz .LBB0_53
; %bb.30:
	v_mul_lo_u32 v6, v10, s19
	v_mul_lo_u32 v7, v11, s18
	v_mad_u64_u32 v[4:5], s[6:7], v10, s18, 0
	v_add3_u32 v5, v5, v6, v7
	v_lshlrev_b64 v[4:5], 1, v[4:5]
	v_add_co_u32_e32 v4, vcc, v9, v4
	v_addc_co_u32_e32 v5, vcc, v12, v5, vcc
	v_lshlrev_b64 v[6:7], 1, v[10:11]
	v_mov_b32_e32 v14, s17
	v_add_co_u32_e32 v13, vcc, s16, v6
	v_addc_co_u32_e32 v14, vcc, v14, v7, vcc
	v_cmp_gt_i32_e32 vcc, s14, v8
	s_and_saveexec_b64 s[6:7], vcc
	s_cbranch_execz .LBB0_34
; %bb.31:
	s_andn2_b64 vcc, exec, s[2:3]
	v_pk_mov_b32 v[6:7], v[4:5], v[4:5] op_sel:[0,1]
	s_cbranch_vccnz .LBB0_33
; %bb.32:
	v_mad_u64_u32 v[6:7], s[8:9], v8, s18, 0
	v_mov_b32_e32 v16, v7
	v_mad_u64_u32 v[16:17], s[8:9], v8, s19, v[16:17]
	v_mov_b32_e32 v7, v16
	v_lshlrev_b64 v[6:7], 1, v[6:7]
	v_add_co_u32_e32 v6, vcc, v13, v6
	v_addc_co_u32_e32 v7, vcc, v14, v7, vcc
.LBB0_33:
	global_load_ushort v6, v[6:7], off
	s_waitcnt vmcnt(0)
	v_cmp_neq_f16_e32 vcc, 0, v6
	v_addc_co_u32_e32 v0, vcc, 0, v0, vcc
.LBB0_34:
	s_or_b64 exec, exec, s[6:7]
	v_or_b32_e32 v15, 1, v8
	v_cmp_gt_i32_e32 vcc, s14, v15
	s_and_saveexec_b64 s[6:7], vcc
	s_cbranch_execz .LBB0_40
; %bb.35:
	s_andn2_b64 vcc, exec, s[0:1]
	s_cbranch_vccnz .LBB0_37
; %bb.36:
	v_add_co_u32_e32 v6, vcc, 2, v4
	v_addc_co_u32_e32 v7, vcc, 0, v5, vcc
	s_cbranch_execz .LBB0_38
	s_branch .LBB0_39
.LBB0_37:
                                        ; implicit-def: $vgpr6_vgpr7
.LBB0_38:
	v_mad_u64_u32 v[6:7], s[8:9], v15, s18, 0
	v_mov_b32_e32 v16, v7
	v_mad_u64_u32 v[16:17], s[8:9], v15, s19, v[16:17]
	v_mov_b32_e32 v7, v16
	v_lshlrev_b64 v[6:7], 1, v[6:7]
	v_add_co_u32_e32 v6, vcc, v13, v6
	v_addc_co_u32_e32 v7, vcc, v14, v7, vcc
.LBB0_39:
	global_load_ushort v6, v[6:7], off
	s_waitcnt vmcnt(0)
	v_cmp_neq_f16_e32 vcc, 0, v6
	v_addc_co_u32_e32 v0, vcc, 0, v0, vcc
.LBB0_40:
	s_or_b64 exec, exec, s[6:7]
	v_or_b32_e32 v15, 2, v8
	v_cmp_gt_i32_e32 vcc, s14, v15
	s_and_saveexec_b64 s[6:7], vcc
	s_cbranch_execz .LBB0_46
; %bb.41:
	s_andn2_b64 vcc, exec, s[0:1]
	s_cbranch_vccnz .LBB0_43
; %bb.42:
	v_add_co_u32_e32 v6, vcc, 4, v4
	v_addc_co_u32_e32 v7, vcc, 0, v5, vcc
	s_cbranch_execz .LBB0_44
	s_branch .LBB0_45
.LBB0_43:
                                        ; implicit-def: $vgpr6_vgpr7
.LBB0_44:
	v_mad_u64_u32 v[6:7], s[8:9], v15, s18, 0
	v_mov_b32_e32 v16, v7
	v_mad_u64_u32 v[16:17], s[8:9], v15, s19, v[16:17]
	v_mov_b32_e32 v7, v16
	v_lshlrev_b64 v[6:7], 1, v[6:7]
	v_add_co_u32_e32 v6, vcc, v13, v6
	v_addc_co_u32_e32 v7, vcc, v14, v7, vcc
.LBB0_45:
	global_load_ushort v6, v[6:7], off
	s_waitcnt vmcnt(0)
	v_cmp_neq_f16_e32 vcc, 0, v6
	v_addc_co_u32_e32 v0, vcc, 0, v0, vcc
.LBB0_46:
	s_or_b64 exec, exec, s[6:7]
	v_or_b32_e32 v6, 3, v8
	v_cmp_gt_i32_e32 vcc, s14, v6
	s_and_saveexec_b64 s[6:7], vcc
	s_cbranch_execz .LBB0_52
; %bb.47:
	s_andn2_b64 vcc, exec, s[0:1]
	s_cbranch_vccnz .LBB0_49
; %bb.48:
	v_add_co_u32_e32 v4, vcc, 6, v4
	v_addc_co_u32_e32 v5, vcc, 0, v5, vcc
	s_cbranch_execz .LBB0_50
	s_branch .LBB0_51
.LBB0_49:
                                        ; implicit-def: $vgpr4_vgpr5
.LBB0_50:
	v_mad_u64_u32 v[4:5], s[8:9], v6, s18, 0
	v_mov_b32_e32 v16, v5
	v_mad_u64_u32 v[6:7], s[8:9], v6, s19, v[16:17]
	v_mov_b32_e32 v5, v6
	v_lshlrev_b64 v[4:5], 1, v[4:5]
	v_add_co_u32_e32 v4, vcc, v13, v4
	v_addc_co_u32_e32 v5, vcc, v14, v5, vcc
.LBB0_51:
	global_load_ushort v4, v[4:5], off
	s_waitcnt vmcnt(0)
	v_cmp_neq_f16_e32 vcc, 0, v4
	v_addc_co_u32_e32 v0, vcc, 0, v0, vcc
.LBB0_52:
	s_or_b64 exec, exec, s[6:7]
.LBB0_53:
	s_or_b64 exec, exec, s[4:5]
	v_cmp_gt_i32_e32 vcc, s13, v28
	s_and_saveexec_b64 s[4:5], vcc
	s_cbranch_execz .LBB0_77
; %bb.54:
	v_ashrrev_i32_e32 v4, 31, v28
	v_mul_lo_u32 v6, v28, s19
	v_mul_lo_u32 v7, v4, s18
	v_mad_u64_u32 v[4:5], s[6:7], v28, s18, 0
	v_add3_u32 v5, v5, v6, v7
	v_lshlrev_b64 v[4:5], 1, v[4:5]
	v_add_co_u32_e32 v4, vcc, v9, v4
	v_addc_co_u32_e32 v5, vcc, v12, v5, vcc
	v_lshlrev_b64 v[6:7], 1, v[10:11]
	v_mov_b32_e32 v14, s17
	v_add_co_u32_e32 v13, vcc, s16, v6
	v_addc_co_u32_e32 v14, vcc, v14, v7, vcc
	v_cmp_gt_i32_e32 vcc, s14, v8
	s_and_saveexec_b64 s[6:7], vcc
	s_cbranch_execz .LBB0_58
; %bb.55:
	s_andn2_b64 vcc, exec, s[2:3]
	v_pk_mov_b32 v[6:7], v[4:5], v[4:5] op_sel:[0,1]
	s_cbranch_vccnz .LBB0_57
; %bb.56:
	v_mad_u64_u32 v[6:7], s[8:9], v8, s18, 0
	v_mov_b32_e32 v16, v7
	v_mad_u64_u32 v[16:17], s[8:9], v8, s19, v[16:17]
	v_mov_b32_e32 v7, v16
	v_lshlrev_b64 v[6:7], 1, v[6:7]
	v_add_co_u32_e32 v6, vcc, v13, v6
	v_addc_co_u32_e32 v7, vcc, v14, v7, vcc
	v_add_co_u32_e32 v6, vcc, 0x80, v6
	v_addc_co_u32_e32 v7, vcc, 0, v7, vcc
.LBB0_57:
	global_load_ushort v6, v[6:7], off
	s_waitcnt vmcnt(0)
	v_cmp_neq_f16_e32 vcc, 0, v6
	v_addc_co_u32_e32 v1, vcc, 0, v1, vcc
.LBB0_58:
	s_or_b64 exec, exec, s[6:7]
	v_or_b32_e32 v15, 1, v8
	v_cmp_gt_i32_e32 vcc, s14, v15
	s_and_saveexec_b64 s[6:7], vcc
	s_cbranch_execz .LBB0_64
; %bb.59:
	s_andn2_b64 vcc, exec, s[0:1]
	s_cbranch_vccnz .LBB0_61
; %bb.60:
	v_add_co_u32_e32 v6, vcc, 2, v4
	v_addc_co_u32_e32 v7, vcc, 0, v5, vcc
	s_cbranch_execz .LBB0_62
	s_branch .LBB0_63
.LBB0_61:
                                        ; implicit-def: $vgpr6_vgpr7
.LBB0_62:
	v_mad_u64_u32 v[6:7], s[8:9], v15, s18, 0
	v_mov_b32_e32 v16, v7
	v_mad_u64_u32 v[16:17], s[8:9], v15, s19, v[16:17]
	v_mov_b32_e32 v7, v16
	v_lshlrev_b64 v[6:7], 1, v[6:7]
	v_add_co_u32_e32 v6, vcc, v13, v6
	v_addc_co_u32_e32 v7, vcc, v14, v7, vcc
	v_add_co_u32_e32 v6, vcc, 0x80, v6
	v_addc_co_u32_e32 v7, vcc, 0, v7, vcc
.LBB0_63:
	global_load_ushort v6, v[6:7], off
	s_waitcnt vmcnt(0)
	v_cmp_neq_f16_e32 vcc, 0, v6
	v_addc_co_u32_e32 v1, vcc, 0, v1, vcc
.LBB0_64:
	s_or_b64 exec, exec, s[6:7]
	v_or_b32_e32 v15, 2, v8
	v_cmp_gt_i32_e32 vcc, s14, v15
	s_and_saveexec_b64 s[6:7], vcc
	s_cbranch_execz .LBB0_70
; %bb.65:
	s_andn2_b64 vcc, exec, s[0:1]
	s_cbranch_vccnz .LBB0_67
; %bb.66:
	v_add_co_u32_e32 v6, vcc, 4, v4
	v_addc_co_u32_e32 v7, vcc, 0, v5, vcc
	s_cbranch_execz .LBB0_68
	s_branch .LBB0_69
.LBB0_67:
                                        ; implicit-def: $vgpr6_vgpr7
.LBB0_68:
	v_mad_u64_u32 v[6:7], s[8:9], v15, s18, 0
	v_mov_b32_e32 v16, v7
	v_mad_u64_u32 v[16:17], s[8:9], v15, s19, v[16:17]
	v_mov_b32_e32 v7, v16
	v_lshlrev_b64 v[6:7], 1, v[6:7]
	v_add_co_u32_e32 v6, vcc, v13, v6
	v_addc_co_u32_e32 v7, vcc, v14, v7, vcc
	v_add_co_u32_e32 v6, vcc, 0x80, v6
	v_addc_co_u32_e32 v7, vcc, 0, v7, vcc
.LBB0_69:
	global_load_ushort v6, v[6:7], off
	s_waitcnt vmcnt(0)
	v_cmp_neq_f16_e32 vcc, 0, v6
	v_addc_co_u32_e32 v1, vcc, 0, v1, vcc
.LBB0_70:
	s_or_b64 exec, exec, s[6:7]
	v_or_b32_e32 v6, 3, v8
	v_cmp_gt_i32_e32 vcc, s14, v6
	s_and_saveexec_b64 s[6:7], vcc
	s_cbranch_execz .LBB0_76
; %bb.71:
	s_andn2_b64 vcc, exec, s[0:1]
	s_cbranch_vccnz .LBB0_73
; %bb.72:
	v_add_co_u32_e32 v4, vcc, 6, v4
	v_addc_co_u32_e32 v5, vcc, 0, v5, vcc
	s_cbranch_execz .LBB0_74
	s_branch .LBB0_75
.LBB0_73:
                                        ; implicit-def: $vgpr4_vgpr5
.LBB0_74:
	v_mad_u64_u32 v[4:5], s[8:9], v6, s18, 0
	v_mov_b32_e32 v16, v5
	v_mad_u64_u32 v[6:7], s[8:9], v6, s19, v[16:17]
	v_mov_b32_e32 v5, v6
	v_lshlrev_b64 v[4:5], 1, v[4:5]
	v_add_co_u32_e32 v4, vcc, v13, v4
	v_addc_co_u32_e32 v5, vcc, v14, v5, vcc
	v_add_co_u32_e32 v4, vcc, 0x80, v4
	v_addc_co_u32_e32 v5, vcc, 0, v5, vcc
.LBB0_75:
	global_load_ushort v4, v[4:5], off
	s_waitcnt vmcnt(0)
	v_cmp_neq_f16_e32 vcc, 0, v4
	v_addc_co_u32_e32 v1, vcc, 0, v1, vcc
.LBB0_76:
	s_or_b64 exec, exec, s[6:7]
.LBB0_77:
	s_or_b64 exec, exec, s[4:5]
	v_or_b32_e32 v4, 0x80, v10
	v_cmp_gt_i32_e32 vcc, s13, v4
	s_and_saveexec_b64 s[4:5], vcc
	s_cbranch_execz .LBB0_101
; %bb.78:
	v_ashrrev_i32_e32 v5, 31, v4
	v_mul_lo_u32 v6, v4, s19
	v_mul_lo_u32 v7, v5, s18
	v_mad_u64_u32 v[4:5], s[6:7], v4, s18, 0
	v_add3_u32 v5, v5, v6, v7
	v_lshlrev_b64 v[4:5], 1, v[4:5]
	v_add_co_u32_e32 v4, vcc, v9, v4
	v_addc_co_u32_e32 v5, vcc, v12, v5, vcc
	v_lshlrev_b64 v[6:7], 1, v[10:11]
	v_mov_b32_e32 v14, s17
	v_add_co_u32_e32 v13, vcc, s16, v6
	v_addc_co_u32_e32 v14, vcc, v14, v7, vcc
	v_cmp_gt_i32_e32 vcc, s14, v8
	s_and_saveexec_b64 s[6:7], vcc
	s_cbranch_execz .LBB0_82
; %bb.79:
	s_andn2_b64 vcc, exec, s[2:3]
	v_pk_mov_b32 v[6:7], v[4:5], v[4:5] op_sel:[0,1]
	s_cbranch_vccnz .LBB0_81
; %bb.80:
	v_mad_u64_u32 v[6:7], s[8:9], v8, s18, 0
	v_mov_b32_e32 v16, v7
	v_mad_u64_u32 v[16:17], s[8:9], v8, s19, v[16:17]
	v_mov_b32_e32 v7, v16
	v_lshlrev_b64 v[6:7], 1, v[6:7]
	v_add_co_u32_e32 v6, vcc, v13, v6
	v_addc_co_u32_e32 v7, vcc, v14, v7, vcc
	v_add_co_u32_e32 v6, vcc, 0x100, v6
	v_addc_co_u32_e32 v7, vcc, 0, v7, vcc
.LBB0_81:
	global_load_ushort v6, v[6:7], off
	s_waitcnt vmcnt(0)
	v_cmp_neq_f16_e32 vcc, 0, v6
	v_addc_co_u32_e32 v2, vcc, 0, v2, vcc
.LBB0_82:
	s_or_b64 exec, exec, s[6:7]
	v_or_b32_e32 v15, 1, v8
	v_cmp_gt_i32_e32 vcc, s14, v15
	s_and_saveexec_b64 s[6:7], vcc
	s_cbranch_execz .LBB0_88
; %bb.83:
	s_andn2_b64 vcc, exec, s[0:1]
	s_cbranch_vccnz .LBB0_85
; %bb.84:
	v_add_co_u32_e32 v6, vcc, 2, v4
	v_addc_co_u32_e32 v7, vcc, 0, v5, vcc
	s_cbranch_execz .LBB0_86
	s_branch .LBB0_87
.LBB0_85:
                                        ; implicit-def: $vgpr6_vgpr7
.LBB0_86:
	v_mad_u64_u32 v[6:7], s[8:9], v15, s18, 0
	v_mov_b32_e32 v16, v7
	v_mad_u64_u32 v[16:17], s[8:9], v15, s19, v[16:17]
	v_mov_b32_e32 v7, v16
	v_lshlrev_b64 v[6:7], 1, v[6:7]
	v_add_co_u32_e32 v6, vcc, v13, v6
	v_addc_co_u32_e32 v7, vcc, v14, v7, vcc
	v_add_co_u32_e32 v6, vcc, 0x100, v6
	v_addc_co_u32_e32 v7, vcc, 0, v7, vcc
.LBB0_87:
	global_load_ushort v6, v[6:7], off
	s_waitcnt vmcnt(0)
	v_cmp_neq_f16_e32 vcc, 0, v6
	v_addc_co_u32_e32 v2, vcc, 0, v2, vcc
.LBB0_88:
	s_or_b64 exec, exec, s[6:7]
	v_or_b32_e32 v15, 2, v8
	v_cmp_gt_i32_e32 vcc, s14, v15
	s_and_saveexec_b64 s[6:7], vcc
	s_cbranch_execz .LBB0_94
; %bb.89:
	s_andn2_b64 vcc, exec, s[0:1]
	s_cbranch_vccnz .LBB0_91
; %bb.90:
	v_add_co_u32_e32 v6, vcc, 4, v4
	v_addc_co_u32_e32 v7, vcc, 0, v5, vcc
	s_cbranch_execz .LBB0_92
	s_branch .LBB0_93
.LBB0_91:
                                        ; implicit-def: $vgpr6_vgpr7
.LBB0_92:
	v_mad_u64_u32 v[6:7], s[8:9], v15, s18, 0
	v_mov_b32_e32 v16, v7
	v_mad_u64_u32 v[16:17], s[8:9], v15, s19, v[16:17]
	v_mov_b32_e32 v7, v16
	v_lshlrev_b64 v[6:7], 1, v[6:7]
	v_add_co_u32_e32 v6, vcc, v13, v6
	v_addc_co_u32_e32 v7, vcc, v14, v7, vcc
	v_add_co_u32_e32 v6, vcc, 0x100, v6
	v_addc_co_u32_e32 v7, vcc, 0, v7, vcc
.LBB0_93:
	global_load_ushort v6, v[6:7], off
	s_waitcnt vmcnt(0)
	v_cmp_neq_f16_e32 vcc, 0, v6
	v_addc_co_u32_e32 v2, vcc, 0, v2, vcc
.LBB0_94:
	s_or_b64 exec, exec, s[6:7]
	v_or_b32_e32 v6, 3, v8
	v_cmp_gt_i32_e32 vcc, s14, v6
	s_and_saveexec_b64 s[6:7], vcc
	s_cbranch_execz .LBB0_100
; %bb.95:
	s_andn2_b64 vcc, exec, s[0:1]
	s_cbranch_vccnz .LBB0_97
; %bb.96:
	v_add_co_u32_e32 v4, vcc, 6, v4
	v_addc_co_u32_e32 v5, vcc, 0, v5, vcc
	s_cbranch_execz .LBB0_98
	s_branch .LBB0_99
.LBB0_97:
                                        ; implicit-def: $vgpr4_vgpr5
.LBB0_98:
	v_mad_u64_u32 v[4:5], s[8:9], v6, s18, 0
	v_mov_b32_e32 v16, v5
	v_mad_u64_u32 v[6:7], s[8:9], v6, s19, v[16:17]
	v_mov_b32_e32 v5, v6
	v_lshlrev_b64 v[4:5], 1, v[4:5]
	v_add_co_u32_e32 v4, vcc, v13, v4
	v_addc_co_u32_e32 v5, vcc, v14, v5, vcc
	v_add_co_u32_e32 v4, vcc, 0x100, v4
	v_addc_co_u32_e32 v5, vcc, 0, v5, vcc
.LBB0_99:
	global_load_ushort v4, v[4:5], off
	s_waitcnt vmcnt(0)
	v_cmp_neq_f16_e32 vcc, 0, v4
	v_addc_co_u32_e32 v2, vcc, 0, v2, vcc
.LBB0_100:
	s_or_b64 exec, exec, s[6:7]
.LBB0_101:
	s_or_b64 exec, exec, s[4:5]
	v_or_b32_e32 v4, 0xc0, v10
	v_cmp_gt_i32_e32 vcc, s13, v4
	s_and_saveexec_b64 s[4:5], vcc
	s_cbranch_execz .LBB0_125
; %bb.102:
	v_ashrrev_i32_e32 v5, 31, v4
	v_mul_lo_u32 v6, v4, s19
	v_mul_lo_u32 v7, v5, s18
	v_mad_u64_u32 v[4:5], s[6:7], v4, s18, 0
	v_add3_u32 v5, v5, v6, v7
	v_lshlrev_b64 v[4:5], 1, v[4:5]
	v_add_co_u32_e32 v4, vcc, v9, v4
	v_addc_co_u32_e32 v5, vcc, v12, v5, vcc
	v_lshlrev_b64 v[6:7], 1, v[10:11]
	v_mov_b32_e32 v10, s17
	v_add_co_u32_e32 v9, vcc, s16, v6
	v_addc_co_u32_e32 v10, vcc, v10, v7, vcc
	v_cmp_gt_i32_e32 vcc, s14, v8
	s_and_saveexec_b64 s[6:7], vcc
	s_cbranch_execz .LBB0_106
; %bb.103:
	s_andn2_b64 vcc, exec, s[2:3]
	v_pk_mov_b32 v[6:7], v[4:5], v[4:5] op_sel:[0,1]
	s_cbranch_vccnz .LBB0_105
; %bb.104:
	v_mad_u64_u32 v[6:7], s[2:3], v8, s18, 0
	v_mov_b32_e32 v12, v7
	v_mad_u64_u32 v[12:13], s[2:3], v8, s19, v[12:13]
	v_mov_b32_e32 v7, v12
	v_lshlrev_b64 v[6:7], 1, v[6:7]
	v_add_co_u32_e32 v6, vcc, v9, v6
	v_addc_co_u32_e32 v7, vcc, v10, v7, vcc
	v_add_co_u32_e32 v6, vcc, 0x180, v6
	v_addc_co_u32_e32 v7, vcc, 0, v7, vcc
.LBB0_105:
	global_load_ushort v6, v[6:7], off
	s_waitcnt vmcnt(0)
	v_cmp_neq_f16_e32 vcc, 0, v6
	v_addc_co_u32_e32 v3, vcc, 0, v3, vcc
.LBB0_106:
	s_or_b64 exec, exec, s[6:7]
	v_or_b32_e32 v11, 1, v8
	v_cndmask_b32_e64 v6, 0, 1, s[0:1]
	v_cmp_gt_i32_e32 vcc, s14, v11
	v_cmp_ne_u32_e64 s[0:1], 1, v6
	s_and_saveexec_b64 s[2:3], vcc
	s_cbranch_execz .LBB0_112
; %bb.107:
	s_and_b64 vcc, exec, s[0:1]
	s_cbranch_vccnz .LBB0_109
; %bb.108:
	v_add_co_u32_e32 v6, vcc, 2, v4
	v_addc_co_u32_e32 v7, vcc, 0, v5, vcc
	s_cbranch_execz .LBB0_110
	s_branch .LBB0_111
.LBB0_109:
                                        ; implicit-def: $vgpr6_vgpr7
.LBB0_110:
	v_mad_u64_u32 v[6:7], s[6:7], v11, s18, 0
	v_mov_b32_e32 v12, v7
	v_mad_u64_u32 v[12:13], s[6:7], v11, s19, v[12:13]
	v_mov_b32_e32 v7, v12
	v_lshlrev_b64 v[6:7], 1, v[6:7]
	v_add_co_u32_e32 v6, vcc, v9, v6
	v_addc_co_u32_e32 v7, vcc, v10, v7, vcc
	v_add_co_u32_e32 v6, vcc, 0x180, v6
	v_addc_co_u32_e32 v7, vcc, 0, v7, vcc
.LBB0_111:
	global_load_ushort v6, v[6:7], off
	s_waitcnt vmcnt(0)
	v_cmp_neq_f16_e32 vcc, 0, v6
	v_addc_co_u32_e32 v3, vcc, 0, v3, vcc
.LBB0_112:
	s_or_b64 exec, exec, s[2:3]
	v_or_b32_e32 v11, 2, v8
	v_cmp_gt_i32_e32 vcc, s14, v11
	s_and_saveexec_b64 s[2:3], vcc
	s_cbranch_execz .LBB0_118
; %bb.113:
	s_and_b64 vcc, exec, s[0:1]
	s_cbranch_vccnz .LBB0_115
; %bb.114:
	v_add_co_u32_e32 v6, vcc, 4, v4
	v_addc_co_u32_e32 v7, vcc, 0, v5, vcc
	s_cbranch_execz .LBB0_116
	s_branch .LBB0_117
.LBB0_115:
                                        ; implicit-def: $vgpr6_vgpr7
.LBB0_116:
	v_mad_u64_u32 v[6:7], s[6:7], v11, s18, 0
	v_mov_b32_e32 v12, v7
	v_mad_u64_u32 v[12:13], s[6:7], v11, s19, v[12:13]
	v_mov_b32_e32 v7, v12
	v_lshlrev_b64 v[6:7], 1, v[6:7]
	v_add_co_u32_e32 v6, vcc, v9, v6
	v_addc_co_u32_e32 v7, vcc, v10, v7, vcc
	v_add_co_u32_e32 v6, vcc, 0x180, v6
	v_addc_co_u32_e32 v7, vcc, 0, v7, vcc
.LBB0_117:
	global_load_ushort v6, v[6:7], off
	s_waitcnt vmcnt(0)
	v_cmp_neq_f16_e32 vcc, 0, v6
	v_addc_co_u32_e32 v3, vcc, 0, v3, vcc
.LBB0_118:
	s_or_b64 exec, exec, s[2:3]
	v_or_b32_e32 v6, 3, v8
	v_cmp_gt_i32_e32 vcc, s14, v6
	s_and_saveexec_b64 s[2:3], vcc
	s_cbranch_execz .LBB0_124
; %bb.119:
	s_and_b64 vcc, exec, s[0:1]
	s_cbranch_vccnz .LBB0_121
; %bb.120:
	v_add_co_u32_e32 v4, vcc, 6, v4
	v_addc_co_u32_e32 v5, vcc, 0, v5, vcc
	s_cbranch_execz .LBB0_122
	s_branch .LBB0_123
.LBB0_121:
                                        ; implicit-def: $vgpr4_vgpr5
.LBB0_122:
	v_mad_u64_u32 v[4:5], s[0:1], v6, s18, 0
	v_mov_b32_e32 v8, v5
	v_mad_u64_u32 v[6:7], s[0:1], v6, s19, v[8:9]
	v_mov_b32_e32 v5, v6
	v_lshlrev_b64 v[4:5], 1, v[4:5]
	v_add_co_u32_e32 v4, vcc, v9, v4
	v_addc_co_u32_e32 v5, vcc, v10, v5, vcc
	v_add_co_u32_e32 v4, vcc, 0x180, v4
	v_addc_co_u32_e32 v5, vcc, 0, v5, vcc
.LBB0_123:
	global_load_ushort v4, v[4:5], off
	s_waitcnt vmcnt(0)
	v_cmp_neq_f16_e32 vcc, 0, v4
	v_addc_co_u32_e32 v3, vcc, 0, v3, vcc
.LBB0_124:
	s_or_b64 exec, exec, s[2:3]
.LBB0_125:
	s_or_b64 exec, exec, s[4:5]
.LBB0_126:
	v_lshlrev_b32_e32 v4, 2, v25
	s_mov_b32 s0, 0x1fffff00
	v_and_or_b32 v5, v4, s0, v27
	s_movk_i32 s0, 0x100
	v_lshlrev_b32_e32 v5, 2, v5
	v_cmp_gt_u32_e32 vcc, s0, v25
	ds_write2st64_b32 v5, v0, v1 offset1:1
	ds_write2st64_b32 v5, v2, v3 offset0:2 offset1:3
	s_waitcnt lgkmcnt(0)
	s_barrier
	s_and_saveexec_b64 s[0:1], vcc
	s_cbranch_execz .LBB0_129
; %bb.127:
	ds_read2st64_b32 v[2:3], v4 offset1:4
	ds_read2st64_b32 v[6:7], v4 offset0:8 offset1:12
	ds_read2st64_b32 v[8:9], v4 offset0:16 offset1:20
	ds_read2st64_b32 v[10:11], v4 offset0:24 offset1:28
	v_add_u32_e32 v0, s15, v25
	s_waitcnt lgkmcnt(3)
	v_add_u32_e32 v1, v2, v3
	s_waitcnt lgkmcnt(2)
	v_add3_u32 v1, v1, v6, v7
	s_waitcnt lgkmcnt(1)
	v_add3_u32 v1, v1, v8, v9
	ds_read2st64_b32 v[2:3], v4 offset0:32 offset1:36
	ds_read2st64_b32 v[6:7], v4 offset0:40 offset1:44
	ds_read2st64_b32 v[8:9], v4 offset0:48 offset1:52
	ds_read2st64_b32 v[12:13], v4 offset0:56 offset1:60
	s_waitcnt lgkmcnt(4)
	v_add3_u32 v1, v1, v10, v11
	s_waitcnt lgkmcnt(3)
	v_add3_u32 v1, v1, v2, v3
	s_waitcnt lgkmcnt(2)
	v_add3_u32 v1, v1, v6, v7
	s_waitcnt lgkmcnt(1)
	v_add3_u32 v1, v1, v8, v9
	s_waitcnt lgkmcnt(0)
	v_add3_u32 v2, v1, v12, v13
	v_cmp_gt_i32_e32 vcc, s13, v0
	ds_write_b32 v4, v2
	s_and_b64 exec, exec, vcc
	s_cbranch_execz .LBB0_129
; %bb.128:
	v_ashrrev_i32_e32 v1, 31, v0
	v_lshlrev_b64 v[0:1], 2, v[0:1]
	v_mov_b32_e32 v3, s21
	v_add_co_u32_e32 v0, vcc, s20, v0
	v_addc_co_u32_e32 v1, vcc, v3, v1, vcc
	global_store_dword v[0:1], v2, off
.LBB0_129:
	s_endpgm
	.section	.rodata,"a",@progbits
	.p2align	6, 0x0
	.amdhsa_kernel _ZN9rocsparseL14nnz_kernel_rowILi64ELi16EiiDF16_EEv16rocsparse_order_T2_S2_PKT3_lPT1_
		.amdhsa_group_segment_fixed_size 16384
		.amdhsa_private_segment_fixed_size 0
		.amdhsa_kernarg_size 296
		.amdhsa_user_sgpr_count 6
		.amdhsa_user_sgpr_private_segment_buffer 1
		.amdhsa_user_sgpr_dispatch_ptr 0
		.amdhsa_user_sgpr_queue_ptr 0
		.amdhsa_user_sgpr_kernarg_segment_ptr 1
		.amdhsa_user_sgpr_dispatch_id 0
		.amdhsa_user_sgpr_flat_scratch_init 0
		.amdhsa_user_sgpr_kernarg_preload_length 0
		.amdhsa_user_sgpr_kernarg_preload_offset 0
		.amdhsa_user_sgpr_private_segment_size 0
		.amdhsa_uses_dynamic_stack 0
		.amdhsa_system_sgpr_private_segment_wavefront_offset 0
		.amdhsa_system_sgpr_workgroup_id_x 1
		.amdhsa_system_sgpr_workgroup_id_y 0
		.amdhsa_system_sgpr_workgroup_id_z 0
		.amdhsa_system_sgpr_workgroup_info 0
		.amdhsa_system_vgpr_workitem_id 1
		.amdhsa_next_free_vgpr 35
		.amdhsa_next_free_sgpr 34
		.amdhsa_accum_offset 36
		.amdhsa_reserve_vcc 1
		.amdhsa_reserve_flat_scratch 0
		.amdhsa_float_round_mode_32 0
		.amdhsa_float_round_mode_16_64 0
		.amdhsa_float_denorm_mode_32 3
		.amdhsa_float_denorm_mode_16_64 3
		.amdhsa_dx10_clamp 1
		.amdhsa_ieee_mode 1
		.amdhsa_fp16_overflow 0
		.amdhsa_tg_split 0
		.amdhsa_exception_fp_ieee_invalid_op 0
		.amdhsa_exception_fp_denorm_src 0
		.amdhsa_exception_fp_ieee_div_zero 0
		.amdhsa_exception_fp_ieee_overflow 0
		.amdhsa_exception_fp_ieee_underflow 0
		.amdhsa_exception_fp_ieee_inexact 0
		.amdhsa_exception_int_div_zero 0
	.end_amdhsa_kernel
	.section	.text._ZN9rocsparseL14nnz_kernel_rowILi64ELi16EiiDF16_EEv16rocsparse_order_T2_S2_PKT3_lPT1_,"axG",@progbits,_ZN9rocsparseL14nnz_kernel_rowILi64ELi16EiiDF16_EEv16rocsparse_order_T2_S2_PKT3_lPT1_,comdat
.Lfunc_end0:
	.size	_ZN9rocsparseL14nnz_kernel_rowILi64ELi16EiiDF16_EEv16rocsparse_order_T2_S2_PKT3_lPT1_, .Lfunc_end0-_ZN9rocsparseL14nnz_kernel_rowILi64ELi16EiiDF16_EEv16rocsparse_order_T2_S2_PKT3_lPT1_
                                        ; -- End function
	.section	.AMDGPU.csdata,"",@progbits
; Kernel info:
; codeLenInByte = 4432
; NumSgprs: 38
; NumVgprs: 35
; NumAgprs: 0
; TotalNumVgprs: 35
; ScratchSize: 0
; MemoryBound: 0
; FloatMode: 240
; IeeeMode: 1
; LDSByteSize: 16384 bytes/workgroup (compile time only)
; SGPRBlocks: 4
; VGPRBlocks: 4
; NumSGPRsForWavesPerEU: 38
; NumVGPRsForWavesPerEU: 35
; AccumOffset: 36
; Occupancy: 8
; WaveLimiterHint : 0
; COMPUTE_PGM_RSRC2:SCRATCH_EN: 0
; COMPUTE_PGM_RSRC2:USER_SGPR: 6
; COMPUTE_PGM_RSRC2:TRAP_HANDLER: 0
; COMPUTE_PGM_RSRC2:TGID_X_EN: 1
; COMPUTE_PGM_RSRC2:TGID_Y_EN: 0
; COMPUTE_PGM_RSRC2:TGID_Z_EN: 0
; COMPUTE_PGM_RSRC2:TIDIG_COMP_CNT: 1
; COMPUTE_PGM_RSRC3_GFX90A:ACCUM_OFFSET: 8
; COMPUTE_PGM_RSRC3_GFX90A:TG_SPLIT: 0
	.section	.text._ZN9rocsparseL14nnz_kernel_colILi256EiiDF16_EEv16rocsparse_order_T1_S2_PKT2_lPT0_,"axG",@progbits,_ZN9rocsparseL14nnz_kernel_colILi256EiiDF16_EEv16rocsparse_order_T1_S2_PKT2_lPT0_,comdat
	.globl	_ZN9rocsparseL14nnz_kernel_colILi256EiiDF16_EEv16rocsparse_order_T1_S2_PKT2_lPT0_ ; -- Begin function _ZN9rocsparseL14nnz_kernel_colILi256EiiDF16_EEv16rocsparse_order_T1_S2_PKT2_lPT0_
	.p2align	8
	.type	_ZN9rocsparseL14nnz_kernel_colILi256EiiDF16_EEv16rocsparse_order_T1_S2_PKT2_lPT0_,@function
_ZN9rocsparseL14nnz_kernel_colILi256EiiDF16_EEv16rocsparse_order_T1_S2_PKT2_lPT0_: ; @_ZN9rocsparseL14nnz_kernel_colILi256EiiDF16_EEv16rocsparse_order_T1_S2_PKT2_lPT0_
; %bb.0:
	s_load_dwordx2 s[8:9], s[4:5], 0x0
	s_load_dwordx4 s[0:3], s[4:5], 0x10
	s_waitcnt lgkmcnt(0)
	s_ashr_i32 s7, s9, 31
	s_lshr_b32 s7, s7, 24
	s_add_i32 s7, s9, s7
	s_and_b32 s10, s7, 0xffffff00
	s_cmp_eq_u32 s8, 1
	s_cbranch_scc1 .LBB1_6
; %bb.1:
	s_cmpk_lt_i32 s9, 0x100
	v_mov_b32_e32 v1, 0
	s_cbranch_scc1 .LBB1_7
; %bb.2:
	v_mad_u64_u32 v[2:3], s[12:13], s2, v0, 0
	v_mov_b32_e32 v4, v3
	s_ashr_i32 s7, s6, 31
	v_mad_u64_u32 v[4:5], s[12:13], s3, v0, v[4:5]
	s_lshl_b64 s[12:13], s[6:7], 1
	v_mov_b32_e32 v3, v4
	s_add_u32 s7, s0, s12
	v_lshlrev_b64 v[2:3], 1, v[2:3]
	s_addc_u32 s8, s1, s13
	v_mov_b32_e32 v1, s8
	v_add_co_u32_e32 v2, vcc, s7, v2
	s_lshl_b64 s[12:13], s[2:3], 9
	v_addc_co_u32_e32 v3, vcc, v1, v3, vcc
	s_mov_b32 s7, 0
	v_mov_b32_e32 v1, 0
	v_mov_b32_e32 v4, s13
	s_branch .LBB1_4
.LBB1_3:                                ;   in Loop: Header=BB1_4 Depth=1
	s_or_b64 exec, exec, s[14:15]
	s_addk_i32 s7, 0x100
	v_add_co_u32_e32 v2, vcc, s12, v2
	s_cmp_ge_i32 s7, s10
	v_addc_co_u32_e32 v3, vcc, v3, v4, vcc
	s_cbranch_scc1 .LBB1_7
.LBB1_4:                                ; =>This Inner Loop Header: Depth=1
	v_add_u32_e32 v5, s7, v0
	v_cmp_gt_i32_e32 vcc, s9, v5
	s_and_saveexec_b64 s[14:15], vcc
	s_cbranch_execz .LBB1_3
; %bb.5:                                ;   in Loop: Header=BB1_4 Depth=1
	global_load_ushort v5, v[2:3], off
	s_waitcnt vmcnt(0)
	v_cmp_neq_f16_e32 vcc, 0, v5
	v_addc_co_u32_e32 v1, vcc, 0, v1, vcc
	s_branch .LBB1_3
.LBB1_6:
	s_mov_b64 s[12:13], 0
                                        ; implicit-def: $vgpr1
                                        ; implicit-def: $vgpr2_vgpr3
	s_cbranch_execnz .LBB1_10
	s_branch .LBB1_21
.LBB1_7:
	v_add_u32_e32 v4, s10, v0
	v_cmp_gt_i32_e32 vcc, s9, v4
	s_mov_b64 s[14:15], 0
	s_mov_b64 s[12:13], 0
                                        ; implicit-def: $vgpr2_vgpr3
	s_and_saveexec_b64 s[16:17], vcc
	s_xor_b64 s[16:17], exec, s[16:17]
	s_cbranch_execz .LBB1_9
; %bb.8:
	v_ashrrev_i32_e32 v2, 31, v4
	s_ashr_i32 s7, s6, 31
	v_mul_lo_u32 v6, v2, s2
	v_mad_u64_u32 v[2:3], s[18:19], v4, s2, 0
	v_mul_lo_u32 v5, v4, s3
	s_lshl_b64 s[18:19], s[6:7], 1
	v_add3_u32 v3, v3, v5, v6
	s_add_u32 s7, s18, s0
	v_lshlrev_b64 v[2:3], 1, v[2:3]
	s_addc_u32 s8, s19, s1
	v_mov_b32_e32 v4, s8
	v_add_co_u32_e32 v2, vcc, s7, v2
	s_mov_b64 s[12:13], exec
	v_addc_co_u32_e32 v3, vcc, v4, v3, vcc
.LBB1_9:
	s_or_b64 exec, exec, s[16:17]
	s_and_b64 vcc, exec, s[14:15]
	s_cbranch_vccz .LBB1_21
.LBB1_10:
	s_ashr_i32 s7, s6, 31
	s_mul_i32 s3, s6, s3
	s_mul_hi_u32 s8, s6, s2
	s_add_i32 s3, s8, s3
	s_mul_i32 s7, s7, s2
	s_add_i32 s3, s3, s7
	s_mul_i32 s2, s6, s2
	v_cmp_gt_i32_e32 vcc, s9, v0
	s_lshl_b64 s[2:3], s[2:3], 1
	v_cndmask_b32_e32 v2, 0, v0, vcc
	s_add_u32 s7, s0, s2
	s_addc_u32 s8, s1, s3
	v_lshlrev_b32_e32 v2, 1, v2
	v_mov_b32_e32 v3, s8
	v_add_co_u32_e32 v4, vcc, s7, v2
	v_mov_b32_e32 v1, 0
	s_mov_b32 s14, 0
	s_cmpk_lt_i32 s9, 0x100
	v_addc_co_u32_e32 v5, vcc, 0, v3, vcc
	s_cbranch_scc1 .LBB1_18
; %bb.11:
	s_max_i32 s7, s10, 0x100
	s_add_i32 s7, s7, -1
	s_cmpk_lg_i32 s7, 0xff
	v_mov_b32_e32 v1, 0
	s_cbranch_scc0 .LBB1_15
; %bb.12:
	s_lshr_b32 s7, s7, 8
	s_add_i32 s7, s7, 1
	s_and_b32 s8, s7, 0x1fffffe
	s_mov_b32 s17, 0
	s_movk_i32 s14, 0x100
	v_mov_b32_e32 v1, 0
	s_mov_b32 s11, s8
	s_mov_b32 s16, s17
	v_mov_b32_e32 v3, 0
.LBB1_13:                               ; =>This Inner Loop Header: Depth=1
	s_lshl_b64 s[18:19], s[16:17], 1
	s_mov_b32 s15, s17
	v_mov_b32_e32 v7, s19
	v_add_co_u32_e32 v6, vcc, s18, v4
	s_lshl_b64 s[20:21], s[14:15], 1
	v_addc_co_u32_e32 v7, vcc, v5, v7, vcc
	v_mov_b32_e32 v9, s21
	v_add_co_u32_e32 v8, vcc, s20, v4
	global_load_ushort v6, v[6:7], off
	v_addc_co_u32_e32 v9, vcc, v5, v9, vcc
	global_load_ushort v7, v[8:9], off
	s_addk_i32 s16, 0x200
	s_add_i32 s11, s11, -2
	s_addk_i32 s14, 0x200
	s_cmp_lg_u32 s11, 0
	s_waitcnt vmcnt(1)
	v_cmp_neq_f16_e32 vcc, 0, v6
	v_addc_co_u32_e32 v1, vcc, 0, v1, vcc
	s_waitcnt vmcnt(0)
	v_cmp_neq_f16_e32 vcc, 0, v7
	v_addc_co_u32_e32 v3, vcc, 0, v3, vcc
	s_cbranch_scc1 .LBB1_13
; %bb.14:
	s_lshl_b32 s14, s8, 8
	s_cmp_lg_u32 s7, s8
	v_add_u32_e32 v1, v1, v3
	s_cselect_b64 s[16:17], -1, 0
	s_and_b64 vcc, exec, s[16:17]
	s_cbranch_vccnz .LBB1_16
	s_branch .LBB1_18
.LBB1_15:
	s_cbranch_execz .LBB1_18
.LBB1_16:
	s_mov_b32 s15, 0
	s_lshl_b64 s[16:17], s[14:15], 1
	s_add_u32 s0, s0, s16
	s_addc_u32 s1, s1, s17
	s_add_u32 s0, s0, s2
	s_addc_u32 s1, s1, s3
	v_mov_b32_e32 v3, s1
	v_add_co_u32_e32 v2, vcc, s0, v2
	v_addc_co_u32_e32 v3, vcc, 0, v3, vcc
.LBB1_17:                               ; =>This Inner Loop Header: Depth=1
	global_load_ushort v6, v[2:3], off
	v_add_co_u32_e32 v2, vcc, 0x200, v2
	v_addc_co_u32_e32 v3, vcc, 0, v3, vcc
	s_addk_i32 s14, 0x100
	s_cmp_ge_i32 s14, s10
	s_waitcnt vmcnt(0)
	v_cmp_neq_f16_e32 vcc, 0, v6
	v_addc_co_u32_e32 v1, vcc, 0, v1, vcc
	s_cbranch_scc0 .LBB1_17
.LBB1_18:
	v_add_u32_e32 v2, s10, v0
	v_cmp_gt_i32_e32 vcc, s9, v2
                                        ; implicit-def: $vgpr2_vgpr3
	s_and_saveexec_b64 s[0:1], vcc
; %bb.19:
	s_ashr_i32 s11, s10, 31
	s_lshl_b64 s[2:3], s[10:11], 1
	v_mov_b32_e32 v3, s3
	v_add_co_u32_e32 v2, vcc, s2, v4
	v_addc_co_u32_e32 v3, vcc, v5, v3, vcc
	s_or_b64 s[12:13], s[12:13], exec
; %bb.20:
	s_or_b64 exec, exec, s[0:1]
.LBB1_21:
	s_and_saveexec_b64 s[0:1], s[12:13]
	s_cbranch_execz .LBB1_23
; %bb.22:
	global_load_ushort v2, v[2:3], off
	s_waitcnt vmcnt(0)
	v_cmp_neq_f16_e32 vcc, 0, v2
	v_addc_co_u32_e32 v1, vcc, 0, v1, vcc
.LBB1_23:
	s_or_b64 exec, exec, s[0:1]
	v_lshlrev_b32_e32 v3, 2, v0
	s_cmpk_lt_i32 s9, 0x100
	s_mov_b64 s[0:1], -1
	v_cmp_eq_u32_e32 vcc, 0, v0
	ds_write_b32 v3, v1
	s_waitcnt lgkmcnt(0)
	s_cbranch_scc1 .LBB1_27
; %bb.24:
	s_and_b64 vcc, exec, s[0:1]
	s_cbranch_vccnz .LBB1_42
.LBB1_25:
	v_cmp_eq_u32_e32 vcc, 0, v0
	s_and_saveexec_b64 s[0:1], vcc
	s_cbranch_execnz .LBB1_59
.LBB1_26:
	s_endpgm
.LBB1_27:
	s_cmp_gt_i32 s9, 1
	s_cselect_b64 s[0:1], -1, 0
	s_mov_b32 s7, 1
	s_and_b64 s[2:3], vcc, s[0:1]
	s_barrier
	s_and_saveexec_b64 s[0:1], s[2:3]
	s_cbranch_execz .LBB1_41
; %bb.28:
	v_mov_b32_e32 v1, 0
	ds_read_b32 v2, v1
	s_cmp_lt_u32 s9, 5
	s_cbranch_scc1 .LBB1_33
; %bb.29:
	s_add_i32 s8, s9, -5
	s_lshr_b32 s7, s8, 2
	s_add_i32 s7, s7, 1
	s_mov_b32 s2, 0
	s_cmp_lt_u32 s8, 28
	s_cbranch_scc1 .LBB1_34
; %bb.30:
	s_and_b32 s3, s7, 0x7ffffff8
	s_mov_b32 s8, 4
	v_mov_b32_e32 v1, 0
	v_mov_b32_e32 v4, 0
	;; [unrolled: 1-line block ×3, first 2 shown]
.LBB1_31:                               ; =>This Inner Loop Header: Depth=1
	v_mov_b32_e32 v36, s8
	ds_read2_b32 v[6:7], v36 offset1:1
	ds_read2_b32 v[8:9], v36 offset0:2 offset1:3
	ds_read2_b32 v[10:11], v36 offset0:4 offset1:5
	;; [unrolled: 1-line block ×15, first 2 shown]
	s_waitcnt lgkmcnt(14)
	v_add_u32_e32 v2, v2, v6
	v_add_u32_e32 v1, v1, v7
	v_add_u32_e32 v4, v4, v8
	v_add_u32_e32 v5, v5, v9
	s_waitcnt lgkmcnt(13)
	v_add_u32_e32 v1, v1, v11
	v_add_u32_e32 v2, v2, v10
	s_waitcnt lgkmcnt(12)
	v_add_u32_e32 v5, v5, v13
	v_add_u32_e32 v4, v4, v12
	;; [unrolled: 3-line block ×10, first 2 shown]
	s_add_i32 s2, s2, 32
	s_addk_i32 s8, 0x80
	s_add_i32 s3, s3, -8
	s_waitcnt lgkmcnt(3)
	v_add_u32_e32 v2, v2, v30
	v_add_u32_e32 v1, v1, v31
	s_waitcnt lgkmcnt(2)
	v_add_u32_e32 v4, v4, v32
	v_add_u32_e32 v5, v5, v33
	s_cmp_lg_u32 s3, 0
	s_waitcnt lgkmcnt(1)
	v_add_u32_e32 v1, v1, v35
	v_add_u32_e32 v2, v2, v34
	s_waitcnt lgkmcnt(0)
	v_add_u32_e32 v5, v5, v37
	v_add_u32_e32 v4, v4, v36
	s_cbranch_scc1 .LBB1_31
; %bb.32:
	s_and_b32 s3, s7, 7
	s_cmp_eq_u32 s3, 0
	s_cbranch_scc0 .LBB1_35
	s_branch .LBB1_37
.LBB1_33:
	s_cbranch_execnz .LBB1_38
	s_branch .LBB1_40
.LBB1_34:
	s_mov_b32 s3, s2
	v_pk_mov_b32 v[4:5], s[2:3], s[2:3] op_sel:[0,1]
	s_and_b32 s3, s7, 7
	s_cmp_eq_u32 s3, 0
	s_cbranch_scc1 .LBB1_37
.LBB1_35:
	s_lshl_b32 s2, s2, 2
	s_add_i32 s2, s2, 4
.LBB1_36:                               ; =>This Inner Loop Header: Depth=1
	v_mov_b32_e32 v8, s2
	ds_read2_b32 v[6:7], v8 offset1:1
	ds_read2_b32 v[8:9], v8 offset0:2 offset1:3
	s_add_i32 s2, s2, 16
	s_add_i32 s3, s3, -1
	s_cmp_lg_u32 s3, 0
	s_waitcnt lgkmcnt(1)
	v_add_u32_e32 v1, v1, v7
	v_add_u32_e32 v2, v2, v6
	s_waitcnt lgkmcnt(0)
	v_add_u32_e32 v5, v5, v9
	v_add_u32_e32 v4, v4, v8
	s_cbranch_scc1 .LBB1_36
.LBB1_37:
	s_add_i32 s2, s9, -1
	s_and_b32 s3, s2, -4
	s_or_b32 s7, s3, 1
	v_add_u32_e32 v1, v5, v1
	s_waitcnt lgkmcnt(0)
	v_add_u32_e32 v2, v4, v2
	s_cmp_lg_u32 s2, s3
	v_add_u32_e32 v2, v2, v1
	s_cselect_b64 s[2:3], -1, 0
	s_and_b64 vcc, exec, s[2:3]
	s_cbranch_vccz .LBB1_40
.LBB1_38:
	s_sub_i32 s2, s9, s7
	s_lshl_b32 s3, s7, 2
.LBB1_39:                               ; =>This Inner Loop Header: Depth=1
	v_mov_b32_e32 v1, s3
	ds_read_b32 v1, v1
	s_add_i32 s2, s2, -1
	s_add_i32 s3, s3, 4
	s_cmp_lg_u32 s2, 0
	s_waitcnt lgkmcnt(0)
	v_add_u32_e32 v2, v2, v1
	s_cbranch_scc1 .LBB1_39
.LBB1_40:
	v_mov_b32_e32 v1, 0
	s_waitcnt lgkmcnt(0)
	ds_write_b32 v1, v2
.LBB1_41:
	s_or_b64 exec, exec, s[0:1]
	s_waitcnt lgkmcnt(0)
	s_barrier
	s_branch .LBB1_25
.LBB1_42:
	s_movk_i32 s0, 0x80
	v_cmp_gt_u32_e32 vcc, s0, v0
	s_barrier
	s_and_saveexec_b64 s[0:1], vcc
	s_cbranch_execz .LBB1_44
; %bb.43:
	ds_read2st64_b32 v[4:5], v3 offset1:2
	s_waitcnt lgkmcnt(0)
	v_add_u32_e32 v1, v4, v5
	ds_write_b32 v3, v1
.LBB1_44:
	s_or_b64 exec, exec, s[0:1]
	v_cmp_gt_u32_e32 vcc, 64, v0
	s_waitcnt lgkmcnt(0)
	s_barrier
	s_and_saveexec_b64 s[0:1], vcc
	s_cbranch_execz .LBB1_46
; %bb.45:
	ds_read2st64_b32 v[4:5], v3 offset1:1
	s_waitcnt lgkmcnt(0)
	v_add_u32_e32 v1, v4, v5
	ds_write_b32 v3, v1
.LBB1_46:
	s_or_b64 exec, exec, s[0:1]
	v_cmp_gt_u32_e32 vcc, 32, v0
	s_waitcnt lgkmcnt(0)
	s_barrier
	s_and_saveexec_b64 s[0:1], vcc
	s_cbranch_execz .LBB1_48
; %bb.47:
	ds_read2_b32 v[4:5], v3 offset1:32
	s_waitcnt lgkmcnt(0)
	v_add_u32_e32 v1, v4, v5
	ds_write_b32 v3, v1
.LBB1_48:
	s_or_b64 exec, exec, s[0:1]
	v_cmp_gt_u32_e32 vcc, 16, v0
	s_waitcnt lgkmcnt(0)
	s_barrier
	s_and_saveexec_b64 s[0:1], vcc
	s_cbranch_execz .LBB1_50
; %bb.49:
	ds_read2_b32 v[4:5], v3 offset1:16
	s_waitcnt lgkmcnt(0)
	v_add_u32_e32 v1, v4, v5
	ds_write_b32 v3, v1
.LBB1_50:
	s_or_b64 exec, exec, s[0:1]
	v_cmp_gt_u32_e32 vcc, 8, v0
	s_waitcnt lgkmcnt(0)
	s_barrier
	s_and_saveexec_b64 s[0:1], vcc
	s_cbranch_execz .LBB1_52
; %bb.51:
	ds_read2_b32 v[4:5], v3 offset1:8
	s_waitcnt lgkmcnt(0)
	v_add_u32_e32 v1, v4, v5
	ds_write_b32 v3, v1
.LBB1_52:
	s_or_b64 exec, exec, s[0:1]
	v_cmp_gt_u32_e32 vcc, 4, v0
	s_waitcnt lgkmcnt(0)
	s_barrier
	s_and_saveexec_b64 s[0:1], vcc
	s_cbranch_execz .LBB1_54
; %bb.53:
	ds_read2_b32 v[4:5], v3 offset1:4
	s_waitcnt lgkmcnt(0)
	v_add_u32_e32 v1, v4, v5
	ds_write_b32 v3, v1
.LBB1_54:
	s_or_b64 exec, exec, s[0:1]
	v_cmp_gt_u32_e32 vcc, 2, v0
	s_waitcnt lgkmcnt(0)
	s_barrier
	s_and_saveexec_b64 s[0:1], vcc
	s_cbranch_execz .LBB1_56
; %bb.55:
	ds_read2_b32 v[4:5], v3 offset1:2
	s_waitcnt lgkmcnt(0)
	v_add_u32_e32 v1, v4, v5
	ds_write_b32 v3, v1
.LBB1_56:
	s_or_b64 exec, exec, s[0:1]
	v_cmp_eq_u32_e32 vcc, 0, v0
	s_waitcnt lgkmcnt(0)
	s_barrier
	s_and_saveexec_b64 s[0:1], vcc
	s_cbranch_execz .LBB1_58
; %bb.57:
	v_mov_b32_e32 v1, 0
	ds_read_b64 v[2:3], v1
	s_waitcnt lgkmcnt(0)
	v_add_u32_e32 v2, v2, v3
	ds_write_b32 v1, v2
.LBB1_58:
	s_or_b64 exec, exec, s[0:1]
	s_waitcnt lgkmcnt(0)
	s_barrier
	v_cmp_eq_u32_e32 vcc, 0, v0
	s_and_saveexec_b64 s[0:1], vcc
	s_cbranch_execz .LBB1_26
.LBB1_59:
	s_load_dwordx2 s[0:1], s[4:5], 0x20
	v_mov_b32_e32 v0, 0
	ds_read_b32 v1, v0
	s_ashr_i32 s7, s6, 31
	s_lshl_b64 s[2:3], s[6:7], 2
	s_waitcnt lgkmcnt(0)
	s_add_u32 s0, s0, s2
	s_addc_u32 s1, s1, s3
	global_store_dword v0, v1, s[0:1]
	s_endpgm
	.section	.rodata,"a",@progbits
	.p2align	6, 0x0
	.amdhsa_kernel _ZN9rocsparseL14nnz_kernel_colILi256EiiDF16_EEv16rocsparse_order_T1_S2_PKT2_lPT0_
		.amdhsa_group_segment_fixed_size 1024
		.amdhsa_private_segment_fixed_size 0
		.amdhsa_kernarg_size 40
		.amdhsa_user_sgpr_count 6
		.amdhsa_user_sgpr_private_segment_buffer 1
		.amdhsa_user_sgpr_dispatch_ptr 0
		.amdhsa_user_sgpr_queue_ptr 0
		.amdhsa_user_sgpr_kernarg_segment_ptr 1
		.amdhsa_user_sgpr_dispatch_id 0
		.amdhsa_user_sgpr_flat_scratch_init 0
		.amdhsa_user_sgpr_kernarg_preload_length 0
		.amdhsa_user_sgpr_kernarg_preload_offset 0
		.amdhsa_user_sgpr_private_segment_size 0
		.amdhsa_uses_dynamic_stack 0
		.amdhsa_system_sgpr_private_segment_wavefront_offset 0
		.amdhsa_system_sgpr_workgroup_id_x 1
		.amdhsa_system_sgpr_workgroup_id_y 0
		.amdhsa_system_sgpr_workgroup_id_z 0
		.amdhsa_system_sgpr_workgroup_info 0
		.amdhsa_system_vgpr_workitem_id 0
		.amdhsa_next_free_vgpr 38
		.amdhsa_next_free_sgpr 22
		.amdhsa_accum_offset 40
		.amdhsa_reserve_vcc 1
		.amdhsa_reserve_flat_scratch 0
		.amdhsa_float_round_mode_32 0
		.amdhsa_float_round_mode_16_64 0
		.amdhsa_float_denorm_mode_32 3
		.amdhsa_float_denorm_mode_16_64 3
		.amdhsa_dx10_clamp 1
		.amdhsa_ieee_mode 1
		.amdhsa_fp16_overflow 0
		.amdhsa_tg_split 0
		.amdhsa_exception_fp_ieee_invalid_op 0
		.amdhsa_exception_fp_denorm_src 0
		.amdhsa_exception_fp_ieee_div_zero 0
		.amdhsa_exception_fp_ieee_overflow 0
		.amdhsa_exception_fp_ieee_underflow 0
		.amdhsa_exception_fp_ieee_inexact 0
		.amdhsa_exception_int_div_zero 0
	.end_amdhsa_kernel
	.section	.text._ZN9rocsparseL14nnz_kernel_colILi256EiiDF16_EEv16rocsparse_order_T1_S2_PKT2_lPT0_,"axG",@progbits,_ZN9rocsparseL14nnz_kernel_colILi256EiiDF16_EEv16rocsparse_order_T1_S2_PKT2_lPT0_,comdat
.Lfunc_end1:
	.size	_ZN9rocsparseL14nnz_kernel_colILi256EiiDF16_EEv16rocsparse_order_T1_S2_PKT2_lPT0_, .Lfunc_end1-_ZN9rocsparseL14nnz_kernel_colILi256EiiDF16_EEv16rocsparse_order_T1_S2_PKT2_lPT0_
                                        ; -- End function
	.section	.AMDGPU.csdata,"",@progbits
; Kernel info:
; codeLenInByte = 1944
; NumSgprs: 26
; NumVgprs: 38
; NumAgprs: 0
; TotalNumVgprs: 38
; ScratchSize: 0
; MemoryBound: 0
; FloatMode: 240
; IeeeMode: 1
; LDSByteSize: 1024 bytes/workgroup (compile time only)
; SGPRBlocks: 3
; VGPRBlocks: 4
; NumSGPRsForWavesPerEU: 26
; NumVGPRsForWavesPerEU: 38
; AccumOffset: 40
; Occupancy: 8
; WaveLimiterHint : 0
; COMPUTE_PGM_RSRC2:SCRATCH_EN: 0
; COMPUTE_PGM_RSRC2:USER_SGPR: 6
; COMPUTE_PGM_RSRC2:TRAP_HANDLER: 0
; COMPUTE_PGM_RSRC2:TGID_X_EN: 1
; COMPUTE_PGM_RSRC2:TGID_Y_EN: 0
; COMPUTE_PGM_RSRC2:TGID_Z_EN: 0
; COMPUTE_PGM_RSRC2:TIDIG_COMP_CNT: 0
; COMPUTE_PGM_RSRC3_GFX90A:ACCUM_OFFSET: 9
; COMPUTE_PGM_RSRC3_GFX90A:TG_SPLIT: 0
	.section	.text._ZN9rocsparseL14nnz_kernel_rowILi64ELi16Eii18rocsparse_bfloat16EEv16rocsparse_order_T2_S3_PKT3_lPT1_,"axG",@progbits,_ZN9rocsparseL14nnz_kernel_rowILi64ELi16Eii18rocsparse_bfloat16EEv16rocsparse_order_T2_S3_PKT3_lPT1_,comdat
	.globl	_ZN9rocsparseL14nnz_kernel_rowILi64ELi16Eii18rocsparse_bfloat16EEv16rocsparse_order_T2_S3_PKT3_lPT1_ ; -- Begin function _ZN9rocsparseL14nnz_kernel_rowILi64ELi16Eii18rocsparse_bfloat16EEv16rocsparse_order_T2_S3_PKT3_lPT1_
	.p2align	8
	.type	_ZN9rocsparseL14nnz_kernel_rowILi64ELi16Eii18rocsparse_bfloat16EEv16rocsparse_order_T2_S3_PKT3_lPT1_,@function
_ZN9rocsparseL14nnz_kernel_rowILi64ELi16Eii18rocsparse_bfloat16EEv16rocsparse_order_T2_S3_PKT3_lPT1_: ; @_ZN9rocsparseL14nnz_kernel_rowILi64ELi16Eii18rocsparse_bfloat16EEv16rocsparse_order_T2_S3_PKT3_lPT1_
; %bb.0:
	s_load_dword s0, s[4:5], 0x34
	s_load_dwordx2 s[20:21], s[4:5], 0x20
	s_load_dwordx8 s[12:19], s[4:5], 0x0
	v_and_b32_e32 v1, 0x3ff, v0
	v_bfe_u32 v0, v0, 10, 10
	s_waitcnt lgkmcnt(0)
	s_and_b32 s0, s0, 0xffff
	v_mad_u32_u24 v25, v0, s0, v1
	s_ashr_i32 s0, s14, 31
	s_lshr_b32 s0, s0, 26
	s_mov_b32 s8, 0
	v_and_b32_e32 v27, 63, v25
	s_lshl_b32 s15, s6, 8
	s_add_i32 s33, s14, s0
	v_lshrrev_b32_e32 v0, 4, v25
	s_mov_b32 s9, s8
	v_or_b32_e32 v10, s15, v27
	s_andn2_b32 s33, s33, 63
	v_and_b32_e32 v8, 0x7ffffc, v0
	s_mov_b32 s10, s8
	s_mov_b32 s11, s8
	v_pk_mov_b32 v[0:1], s[8:9], s[8:9] op_sel:[0,1]
	v_cmp_gt_i32_e32 vcc, s33, v8
	v_pk_mov_b32 v[2:3], s[10:11], s[10:11] op_sel:[0,1]
	v_or_b32_e32 v28, 64, v10
	s_and_saveexec_b64 s[22:23], vcc
	s_cbranch_execz .LBB2_28
; %bb.1:
	v_or_b32_e32 v0, 0x80, v10
	v_cmp_gt_i32_e64 s[4:5], s13, v0
	v_or_b32_e32 v0, 0xc0, v10
	v_cmp_gt_i32_e64 s[6:7], s13, v0
	v_add_u32_e32 v0, s15, v27
	v_ashrrev_i32_e32 v1, 31, v0
	v_mul_lo_u32 v4, s18, v1
	v_mul_lo_u32 v5, s19, v0
	v_mad_u64_u32 v[2:3], s[26:27], s18, v0, 0
	v_add3_u32 v3, v3, v4, v5
	v_lshrrev_b32_e32 v23, 6, v25
	v_lshlrev_b64 v[2:3], 1, v[2:3]
	v_lshlrev_b32_e32 v21, 3, v23
	v_lshlrev_b32_e32 v19, 2, v23
	v_add_co_u32_e32 v12, vcc, v2, v21
	v_or_b32_e32 v5, 3, v19
	v_addc_co_u32_e32 v9, vcc, 0, v3, vcc
	v_mad_u64_u32 v[2:3], s[26:27], s18, v5, 0
	v_mov_b32_e32 v4, v3
	v_mad_u64_u32 v[4:5], s[26:27], s19, v5, v[4:5]
	v_mov_b32_e32 v3, v4
	v_lshlrev_b64 v[2:3], 1, v[2:3]
	v_lshlrev_b64 v[4:5], 1, v[0:1]
	v_add_u32_e32 v1, 64, v0
	v_add_co_u32_e32 v14, vcc, v2, v4
	v_ashrrev_i32_e32 v2, 31, v1
	v_addc_co_u32_e32 v11, vcc, v3, v5, vcc
	v_mul_lo_u32 v6, s18, v2
	v_mul_lo_u32 v7, s19, v1
	v_mad_u64_u32 v[2:3], s[28:29], s18, v1, 0
	v_add3_u32 v3, v3, v6, v7
	v_lshlrev_b64 v[2:3], 1, v[2:3]
	v_add_co_u32_e32 v16, vcc, v2, v21
	v_or_b32_e32 v1, 2, v19
	v_addc_co_u32_e32 v13, vcc, 0, v3, vcc
	v_mad_u64_u32 v[2:3], s[28:29], s18, v1, 0
	v_mov_b32_e32 v6, v3
	v_mad_u64_u32 v[6:7], s[28:29], s19, v1, v[6:7]
	v_mov_b32_e32 v3, v6
	v_lshlrev_b64 v[2:3], 1, v[2:3]
	v_add_u32_e32 v1, 0x80, v0
	v_add_co_u32_e32 v18, vcc, v2, v4
	v_ashrrev_i32_e32 v2, 31, v1
	v_addc_co_u32_e32 v15, vcc, v3, v5, vcc
	v_mul_lo_u32 v6, s18, v2
	v_mul_lo_u32 v7, s19, v1
	v_mad_u64_u32 v[2:3], s[28:29], s18, v1, 0
	v_add3_u32 v3, v3, v6, v7
	v_lshlrev_b64 v[2:3], 1, v[2:3]
	v_add_co_u32_e32 v20, vcc, v2, v21
	v_addc_co_u32_e32 v17, vcc, 0, v3, vcc
	v_pk_mov_b32 v[2:3], s[18:19], s[18:19] op_sel:[0,1]
	v_mad_u64_u32 v[2:3], s[28:29], s18, v19, v[2:3]
	v_mov_b32_e32 v6, v3
	v_mad_u64_u32 v[6:7], s[28:29], s19, v19, v[6:7]
	v_mov_b32_e32 v3, v6
	v_lshlrev_b64 v[2:3], 1, v[2:3]
	v_add_u32_e32 v0, 0xc0, v0
	v_add_co_u32_e32 v22, vcc, v2, v4
	v_ashrrev_i32_e32 v1, 31, v0
	v_addc_co_u32_e32 v19, vcc, v3, v5, vcc
	v_mul_lo_u32 v2, s18, v1
	v_mul_lo_u32 v3, s19, v0
	v_mad_u64_u32 v[0:1], s[28:29], s18, v0, 0
	v_add3_u32 v1, v1, v2, v3
	v_lshlrev_b64 v[0:1], 1, v[0:1]
	v_add_co_u32_e32 v24, vcc, v0, v21
	v_addc_co_u32_e32 v21, vcc, 0, v1, vcc
	v_mad_u64_u32 v[0:1], s[28:29], s18, v23, 0
	v_mov_b32_e32 v2, v1
	v_mad_u64_u32 v[2:3], s[28:29], s19, v23, v[2:3]
	v_mov_b32_e32 v1, v2
	v_lshlrev_b64 v[0:1], 3, v[0:1]
	v_add_co_u32_e32 v26, vcc, v0, v4
	s_cmp_lg_u32 s12, 1
	v_addc_co_u32_e32 v23, vcc, v1, v5, vcc
	v_pk_mov_b32 v[0:1], s[8:9], s[8:9] op_sel:[0,1]
	s_cselect_b64 s[24:25], -1, 0
	v_cmp_gt_i32_e64 s[0:1], s13, v10
	v_cmp_gt_i32_e64 s[2:3], s13, v28
	s_lshl_b64 s[26:27], s[18:19], 7
	s_mov_b64 s[28:29], 0
	v_pk_mov_b32 v[2:3], s[10:11], s[10:11] op_sel:[0,1]
	s_movk_i32 s34, 0x7fff
	s_branch .LBB2_4
.LBB2_2:                                ;   in Loop: Header=BB2_4 Depth=1
	v_pk_mov_b32 v[0:1], v[4:5], v[4:5] op_sel:[0,1]
	v_pk_mov_b32 v[2:3], v[6:7], v[6:7] op_sel:[0,1]
.LBB2_3:                                ;   in Loop: Header=BB2_4 Depth=1
	s_or_b64 exec, exec, s[10:11]
	v_add_co_u32_e32 v12, vcc, 0x80, v12
	v_addc_co_u32_e32 v9, vcc, 0, v9, vcc
	v_mov_b32_e32 v4, s27
	v_add_co_u32_e32 v14, vcc, s26, v14
	v_addc_co_u32_e32 v11, vcc, v11, v4, vcc
	v_add_co_u32_e32 v16, vcc, 0x80, v16
	v_addc_co_u32_e32 v13, vcc, 0, v13, vcc
	v_add_co_u32_e32 v18, vcc, s26, v18
	v_addc_co_u32_e32 v15, vcc, v15, v4, vcc
	v_add_co_u32_e32 v20, vcc, 0x80, v20
	v_addc_co_u32_e32 v17, vcc, 0, v17, vcc
	v_add_co_u32_e32 v22, vcc, s26, v22
	v_addc_co_u32_e32 v19, vcc, v19, v4, vcc
	v_add_co_u32_e32 v24, vcc, 0x80, v24
	v_add_u32_e32 v8, 64, v8
	v_addc_co_u32_e32 v21, vcc, 0, v21, vcc
	v_cmp_le_i32_e32 vcc, s33, v8
	s_or_b64 s[28:29], vcc, s[28:29]
	v_add_co_u32_e32 v26, vcc, s26, v26
	v_addc_co_u32_e32 v23, vcc, v23, v4, vcc
	s_andn2_b64 exec, exec, s[28:29]
	s_cbranch_execz .LBB2_27
.LBB2_4:                                ; =>This Inner Loop Header: Depth=1
	v_cndmask_b32_e64 v4, 0, 1, s[24:25]
	v_cmp_ne_u32_e64 s[8:9], 1, v4
	s_and_saveexec_b64 s[10:11], s[0:1]
	s_cbranch_execnz .LBB2_8
; %bb.5:                                ;   in Loop: Header=BB2_4 Depth=1
	s_or_b64 exec, exec, s[10:11]
	s_and_saveexec_b64 s[10:11], s[2:3]
	s_cbranch_execnz .LBB2_13
.LBB2_6:                                ;   in Loop: Header=BB2_4 Depth=1
	s_or_b64 exec, exec, s[10:11]
	s_and_saveexec_b64 s[10:11], s[4:5]
	s_cbranch_execnz .LBB2_18
.LBB2_7:                                ;   in Loop: Header=BB2_4 Depth=1
	s_or_b64 exec, exec, s[10:11]
	s_and_saveexec_b64 s[10:11], s[6:7]
	s_cbranch_execz .LBB2_3
	s_branch .LBB2_23
.LBB2_8:                                ;   in Loop: Header=BB2_4 Depth=1
	s_and_b64 vcc, exec, s[8:9]
	v_add_u32_e32 v29, 1, v0
	s_cbranch_vccnz .LBB2_10
; %bb.9:                                ;   in Loop: Header=BB2_4 Depth=1
	v_mov_b32_e32 v5, s17
	v_add_co_u32_e32 v4, vcc, s16, v12
	v_addc_co_u32_e32 v5, vcc, v5, v9, vcc
	global_load_dwordx2 v[30:31], v[4:5], off
	v_mov_b32_e32 v5, v1
	v_mov_b32_e32 v6, v2
	;; [unrolled: 1-line block ×3, first 2 shown]
	s_waitcnt vmcnt(0)
	v_and_b32_e32 v4, 0x7fff, v30
	v_cmp_eq_u16_e32 vcc, 0, v4
	v_and_b32_sdwa v30, v30, s34 dst_sel:DWORD dst_unused:UNUSED_PAD src0_sel:WORD_1 src1_sel:DWORD
	v_cndmask_b32_e32 v4, v29, v0, vcc
	v_add_u32_e32 v33, 1, v4
	v_cmp_eq_u16_e32 vcc, 0, v30
	v_and_b32_e32 v32, 0x7fff, v31
	v_cndmask_b32_e32 v4, v33, v4, vcc
	v_add_u32_e32 v30, 1, v4
	v_cmp_eq_u16_e32 vcc, 0, v32
	v_and_b32_sdwa v31, v31, s34 dst_sel:DWORD dst_unused:UNUSED_PAD src0_sel:WORD_1 src1_sel:DWORD
	v_cndmask_b32_e32 v4, v30, v4, vcc
	v_add_u32_e32 v30, 1, v4
	v_cmp_eq_u16_e32 vcc, 0, v31
	v_cndmask_b32_e32 v4, v30, v4, vcc
	s_cbranch_execz .LBB2_11
	s_branch .LBB2_12
.LBB2_10:                               ;   in Loop: Header=BB2_4 Depth=1
                                        ; implicit-def: $vgpr4_vgpr5_vgpr6_vgpr7
.LBB2_11:                               ;   in Loop: Header=BB2_4 Depth=1
	v_mov_b32_e32 v33, s17
	v_add_co_u32_e32 v4, vcc, s16, v26
	v_addc_co_u32_e32 v5, vcc, v33, v23, vcc
	v_add_co_u32_e32 v6, vcc, s16, v22
	v_addc_co_u32_e32 v7, vcc, v33, v19, vcc
	;; [unrolled: 2-line block ×4, first 2 shown]
	global_load_ushort v34, v[4:5], off
	global_load_ushort v35, v[6:7], off
	global_load_ushort v36, v[30:31], off
	global_load_ushort v37, v[32:33], off
	s_waitcnt vmcnt(3)
	v_and_b32_e32 v4, 0x7fff, v34
	v_cmp_eq_u16_e32 vcc, 0, v4
	s_waitcnt vmcnt(2)
	v_and_b32_e32 v5, 0x7fff, v35
	v_cndmask_b32_e32 v0, v29, v0, vcc
	v_add_u32_e32 v4, 1, v0
	v_cmp_eq_u16_e32 vcc, 0, v5
	s_waitcnt vmcnt(1)
	v_and_b32_e32 v6, 0x7fff, v36
	v_cndmask_b32_e32 v0, v4, v0, vcc
	v_add_u32_e32 v4, 1, v0
	v_cmp_eq_u16_e32 vcc, 0, v6
	s_waitcnt vmcnt(0)
	v_and_b32_e32 v7, 0x7fff, v37
	v_cndmask_b32_e32 v0, v4, v0, vcc
	v_add_u32_e32 v4, 1, v0
	v_cmp_eq_u16_e32 vcc, 0, v7
	v_cndmask_b32_e32 v0, v4, v0, vcc
	v_pk_mov_b32 v[6:7], v[2:3], v[2:3] op_sel:[0,1]
	v_pk_mov_b32 v[4:5], v[0:1], v[0:1] op_sel:[0,1]
.LBB2_12:                               ;   in Loop: Header=BB2_4 Depth=1
	v_pk_mov_b32 v[0:1], v[4:5], v[4:5] op_sel:[0,1]
	v_pk_mov_b32 v[2:3], v[6:7], v[6:7] op_sel:[0,1]
	s_or_b64 exec, exec, s[10:11]
	s_and_saveexec_b64 s[10:11], s[2:3]
	s_cbranch_execz .LBB2_6
.LBB2_13:                               ;   in Loop: Header=BB2_4 Depth=1
	s_and_b64 vcc, exec, s[8:9]
	v_add_u32_e32 v29, 1, v1
	s_cbranch_vccnz .LBB2_15
; %bb.14:                               ;   in Loop: Header=BB2_4 Depth=1
	v_mov_b32_e32 v5, s17
	v_add_co_u32_e32 v4, vcc, s16, v16
	v_addc_co_u32_e32 v5, vcc, v5, v13, vcc
	global_load_dwordx2 v[30:31], v[4:5], off
	v_mov_b32_e32 v4, v0
	v_mov_b32_e32 v6, v2
	;; [unrolled: 1-line block ×3, first 2 shown]
	s_waitcnt vmcnt(0)
	v_and_b32_e32 v5, 0x7fff, v30
	v_cmp_eq_u16_e32 vcc, 0, v5
	v_and_b32_sdwa v30, v30, s34 dst_sel:DWORD dst_unused:UNUSED_PAD src0_sel:WORD_1 src1_sel:DWORD
	v_cndmask_b32_e32 v5, v29, v1, vcc
	v_add_u32_e32 v33, 1, v5
	v_cmp_eq_u16_e32 vcc, 0, v30
	v_and_b32_e32 v32, 0x7fff, v31
	v_cndmask_b32_e32 v5, v33, v5, vcc
	v_add_u32_e32 v30, 1, v5
	v_cmp_eq_u16_e32 vcc, 0, v32
	v_and_b32_sdwa v31, v31, s34 dst_sel:DWORD dst_unused:UNUSED_PAD src0_sel:WORD_1 src1_sel:DWORD
	v_cndmask_b32_e32 v5, v30, v5, vcc
	v_add_u32_e32 v30, 1, v5
	v_cmp_eq_u16_e32 vcc, 0, v31
	v_cndmask_b32_e32 v5, v30, v5, vcc
	s_cbranch_execz .LBB2_16
	s_branch .LBB2_17
.LBB2_15:                               ;   in Loop: Header=BB2_4 Depth=1
                                        ; implicit-def: $vgpr4_vgpr5_vgpr6_vgpr7
.LBB2_16:                               ;   in Loop: Header=BB2_4 Depth=1
	v_mov_b32_e32 v33, s17
	v_add_co_u32_e32 v4, vcc, s16, v26
	v_addc_co_u32_e32 v5, vcc, v33, v23, vcc
	v_add_co_u32_e32 v6, vcc, s16, v22
	v_addc_co_u32_e32 v7, vcc, v33, v19, vcc
	;; [unrolled: 2-line block ×4, first 2 shown]
	global_load_ushort v34, v[4:5], off offset:128
	global_load_ushort v35, v[6:7], off offset:128
	;; [unrolled: 1-line block ×4, first 2 shown]
	s_waitcnt vmcnt(3)
	v_and_b32_e32 v4, 0x7fff, v34
	v_cmp_eq_u16_e32 vcc, 0, v4
	s_waitcnt vmcnt(2)
	v_and_b32_e32 v5, 0x7fff, v35
	v_cndmask_b32_e32 v1, v29, v1, vcc
	v_add_u32_e32 v4, 1, v1
	v_cmp_eq_u16_e32 vcc, 0, v5
	s_waitcnt vmcnt(1)
	v_and_b32_e32 v6, 0x7fff, v36
	v_cndmask_b32_e32 v1, v4, v1, vcc
	v_add_u32_e32 v4, 1, v1
	;; [unrolled: 5-line block ×3, first 2 shown]
	v_cmp_eq_u16_e32 vcc, 0, v7
	v_cndmask_b32_e32 v1, v4, v1, vcc
	v_pk_mov_b32 v[6:7], v[2:3], v[2:3] op_sel:[0,1]
	v_pk_mov_b32 v[4:5], v[0:1], v[0:1] op_sel:[0,1]
.LBB2_17:                               ;   in Loop: Header=BB2_4 Depth=1
	v_pk_mov_b32 v[0:1], v[4:5], v[4:5] op_sel:[0,1]
	v_pk_mov_b32 v[2:3], v[6:7], v[6:7] op_sel:[0,1]
	s_or_b64 exec, exec, s[10:11]
	s_and_saveexec_b64 s[10:11], s[4:5]
	s_cbranch_execz .LBB2_7
.LBB2_18:                               ;   in Loop: Header=BB2_4 Depth=1
	s_and_b64 vcc, exec, s[8:9]
	v_add_u32_e32 v29, 1, v2
	s_cbranch_vccnz .LBB2_20
; %bb.19:                               ;   in Loop: Header=BB2_4 Depth=1
	v_mov_b32_e32 v5, s17
	v_add_co_u32_e32 v4, vcc, s16, v20
	v_addc_co_u32_e32 v5, vcc, v5, v17, vcc
	global_load_dwordx2 v[30:31], v[4:5], off
	v_mov_b32_e32 v4, v0
	v_mov_b32_e32 v5, v1
	;; [unrolled: 1-line block ×3, first 2 shown]
	s_waitcnt vmcnt(0)
	v_and_b32_e32 v6, 0x7fff, v30
	v_cmp_eq_u16_e32 vcc, 0, v6
	v_and_b32_sdwa v30, v30, s34 dst_sel:DWORD dst_unused:UNUSED_PAD src0_sel:WORD_1 src1_sel:DWORD
	v_cndmask_b32_e32 v6, v29, v2, vcc
	v_add_u32_e32 v33, 1, v6
	v_cmp_eq_u16_e32 vcc, 0, v30
	v_and_b32_e32 v32, 0x7fff, v31
	v_cndmask_b32_e32 v6, v33, v6, vcc
	v_add_u32_e32 v30, 1, v6
	v_cmp_eq_u16_e32 vcc, 0, v32
	v_and_b32_sdwa v31, v31, s34 dst_sel:DWORD dst_unused:UNUSED_PAD src0_sel:WORD_1 src1_sel:DWORD
	v_cndmask_b32_e32 v6, v30, v6, vcc
	v_add_u32_e32 v30, 1, v6
	v_cmp_eq_u16_e32 vcc, 0, v31
	v_cndmask_b32_e32 v6, v30, v6, vcc
	s_cbranch_execz .LBB2_21
	s_branch .LBB2_22
.LBB2_20:                               ;   in Loop: Header=BB2_4 Depth=1
                                        ; implicit-def: $vgpr4_vgpr5_vgpr6_vgpr7
.LBB2_21:                               ;   in Loop: Header=BB2_4 Depth=1
	v_mov_b32_e32 v33, s17
	v_add_co_u32_e32 v4, vcc, s16, v26
	v_addc_co_u32_e32 v5, vcc, v33, v23, vcc
	v_add_co_u32_e32 v6, vcc, s16, v22
	v_addc_co_u32_e32 v7, vcc, v33, v19, vcc
	;; [unrolled: 2-line block ×4, first 2 shown]
	global_load_ushort v34, v[4:5], off offset:256
	global_load_ushort v35, v[6:7], off offset:256
	;; [unrolled: 1-line block ×4, first 2 shown]
	s_waitcnt vmcnt(3)
	v_and_b32_e32 v4, 0x7fff, v34
	v_cmp_eq_u16_e32 vcc, 0, v4
	s_waitcnt vmcnt(2)
	v_and_b32_e32 v5, 0x7fff, v35
	v_cndmask_b32_e32 v2, v29, v2, vcc
	v_add_u32_e32 v4, 1, v2
	v_cmp_eq_u16_e32 vcc, 0, v5
	s_waitcnt vmcnt(1)
	v_and_b32_e32 v6, 0x7fff, v36
	v_cndmask_b32_e32 v2, v4, v2, vcc
	v_add_u32_e32 v4, 1, v2
	;; [unrolled: 5-line block ×3, first 2 shown]
	v_cmp_eq_u16_e32 vcc, 0, v7
	v_cndmask_b32_e32 v2, v4, v2, vcc
	v_pk_mov_b32 v[6:7], v[2:3], v[2:3] op_sel:[0,1]
	v_pk_mov_b32 v[4:5], v[0:1], v[0:1] op_sel:[0,1]
.LBB2_22:                               ;   in Loop: Header=BB2_4 Depth=1
	v_pk_mov_b32 v[0:1], v[4:5], v[4:5] op_sel:[0,1]
	v_pk_mov_b32 v[2:3], v[6:7], v[6:7] op_sel:[0,1]
	s_or_b64 exec, exec, s[10:11]
	s_and_saveexec_b64 s[10:11], s[6:7]
	s_cbranch_execz .LBB2_3
.LBB2_23:                               ;   in Loop: Header=BB2_4 Depth=1
	s_and_b64 vcc, exec, s[8:9]
	v_add_u32_e32 v29, 1, v3
	s_cbranch_vccnz .LBB2_25
; %bb.24:                               ;   in Loop: Header=BB2_4 Depth=1
	v_mov_b32_e32 v5, s17
	v_add_co_u32_e32 v4, vcc, s16, v24
	v_addc_co_u32_e32 v5, vcc, v5, v21, vcc
	global_load_dwordx2 v[30:31], v[4:5], off
	v_mov_b32_e32 v4, v0
	v_mov_b32_e32 v5, v1
	;; [unrolled: 1-line block ×3, first 2 shown]
	s_waitcnt vmcnt(0)
	v_and_b32_e32 v7, 0x7fff, v30
	v_cmp_eq_u16_e32 vcc, 0, v7
	v_and_b32_sdwa v30, v30, s34 dst_sel:DWORD dst_unused:UNUSED_PAD src0_sel:WORD_1 src1_sel:DWORD
	v_cndmask_b32_e32 v7, v29, v3, vcc
	v_add_u32_e32 v33, 1, v7
	v_cmp_eq_u16_e32 vcc, 0, v30
	v_and_b32_e32 v32, 0x7fff, v31
	v_cndmask_b32_e32 v7, v33, v7, vcc
	v_add_u32_e32 v30, 1, v7
	v_cmp_eq_u16_e32 vcc, 0, v32
	v_and_b32_sdwa v31, v31, s34 dst_sel:DWORD dst_unused:UNUSED_PAD src0_sel:WORD_1 src1_sel:DWORD
	v_cndmask_b32_e32 v7, v30, v7, vcc
	v_add_u32_e32 v30, 1, v7
	v_cmp_eq_u16_e32 vcc, 0, v31
	v_cndmask_b32_e32 v7, v30, v7, vcc
	s_cbranch_execnz .LBB2_2
	s_branch .LBB2_26
.LBB2_25:                               ;   in Loop: Header=BB2_4 Depth=1
                                        ; implicit-def: $vgpr4_vgpr5_vgpr6_vgpr7
.LBB2_26:                               ;   in Loop: Header=BB2_4 Depth=1
	v_mov_b32_e32 v33, s17
	v_add_co_u32_e32 v4, vcc, s16, v26
	v_addc_co_u32_e32 v5, vcc, v33, v23, vcc
	v_add_co_u32_e32 v6, vcc, s16, v22
	v_addc_co_u32_e32 v7, vcc, v33, v19, vcc
	;; [unrolled: 2-line block ×4, first 2 shown]
	global_load_ushort v34, v[4:5], off offset:384
	global_load_ushort v35, v[6:7], off offset:384
	;; [unrolled: 1-line block ×4, first 2 shown]
	s_waitcnt vmcnt(3)
	v_and_b32_e32 v4, 0x7fff, v34
	v_cmp_eq_u16_e32 vcc, 0, v4
	s_waitcnt vmcnt(2)
	v_and_b32_e32 v5, 0x7fff, v35
	v_cndmask_b32_e32 v3, v29, v3, vcc
	v_add_u32_e32 v4, 1, v3
	v_cmp_eq_u16_e32 vcc, 0, v5
	s_waitcnt vmcnt(1)
	v_and_b32_e32 v6, 0x7fff, v36
	v_cndmask_b32_e32 v3, v4, v3, vcc
	v_add_u32_e32 v4, 1, v3
	;; [unrolled: 5-line block ×3, first 2 shown]
	v_cmp_eq_u16_e32 vcc, 0, v7
	v_cndmask_b32_e32 v3, v4, v3, vcc
	v_pk_mov_b32 v[6:7], v[2:3], v[2:3] op_sel:[0,1]
	v_pk_mov_b32 v[4:5], v[0:1], v[0:1] op_sel:[0,1]
	s_branch .LBB2_2
.LBB2_27:
	s_or_b64 exec, exec, s[28:29]
.LBB2_28:
	s_or_b64 exec, exec, s[22:23]
	s_sub_i32 s0, s14, s33
	s_cmp_lt_i32 s0, 1
	s_cbranch_scc1 .LBB2_126
; %bb.29:
	v_mov_b32_e32 v9, 0
	v_lshlrev_b64 v[4:5], 1, v[8:9]
	s_cmp_eq_u32 s12, 1
	v_mov_b32_e32 v6, s17
	v_add_co_u32_e32 v9, vcc, s16, v4
	s_cselect_b64 s[2:3], -1, 0
	s_cmp_lg_u32 s12, 1
	v_addc_co_u32_e32 v12, vcc, v6, v5, vcc
	s_cselect_b64 s[0:1], -1, 0
	v_cmp_gt_i32_e32 vcc, s13, v10
	v_ashrrev_i32_e32 v11, 31, v10
	s_and_saveexec_b64 s[4:5], vcc
	s_cbranch_execz .LBB2_53
; %bb.30:
	v_mul_lo_u32 v6, v10, s19
	v_mul_lo_u32 v7, v11, s18
	v_mad_u64_u32 v[4:5], s[6:7], v10, s18, 0
	v_add3_u32 v5, v5, v6, v7
	v_lshlrev_b64 v[4:5], 1, v[4:5]
	v_add_co_u32_e32 v4, vcc, v9, v4
	v_addc_co_u32_e32 v5, vcc, v12, v5, vcc
	v_lshlrev_b64 v[6:7], 1, v[10:11]
	v_mov_b32_e32 v14, s17
	v_add_co_u32_e32 v13, vcc, s16, v6
	v_addc_co_u32_e32 v14, vcc, v14, v7, vcc
	v_cmp_gt_i32_e32 vcc, s14, v8
	s_and_saveexec_b64 s[6:7], vcc
	s_cbranch_execz .LBB2_34
; %bb.31:
	s_andn2_b64 vcc, exec, s[2:3]
	v_pk_mov_b32 v[6:7], v[4:5], v[4:5] op_sel:[0,1]
	s_cbranch_vccnz .LBB2_33
; %bb.32:
	v_mad_u64_u32 v[6:7], s[8:9], v8, s18, 0
	v_mov_b32_e32 v16, v7
	v_mad_u64_u32 v[16:17], s[8:9], v8, s19, v[16:17]
	v_mov_b32_e32 v7, v16
	v_lshlrev_b64 v[6:7], 1, v[6:7]
	v_add_co_u32_e32 v6, vcc, v13, v6
	v_addc_co_u32_e32 v7, vcc, v14, v7, vcc
.LBB2_33:
	global_load_ushort v6, v[6:7], off
	s_waitcnt vmcnt(0)
	v_and_b32_e32 v6, 0x7fff, v6
	v_cmp_ne_u16_e32 vcc, 0, v6
	v_addc_co_u32_e32 v0, vcc, 0, v0, vcc
.LBB2_34:
	s_or_b64 exec, exec, s[6:7]
	v_or_b32_e32 v15, 1, v8
	v_cmp_gt_i32_e32 vcc, s14, v15
	s_and_saveexec_b64 s[6:7], vcc
	s_cbranch_execz .LBB2_40
; %bb.35:
	s_andn2_b64 vcc, exec, s[0:1]
	s_cbranch_vccnz .LBB2_37
; %bb.36:
	v_add_co_u32_e32 v6, vcc, 2, v4
	v_addc_co_u32_e32 v7, vcc, 0, v5, vcc
	s_cbranch_execz .LBB2_38
	s_branch .LBB2_39
.LBB2_37:
                                        ; implicit-def: $vgpr6_vgpr7
.LBB2_38:
	v_mad_u64_u32 v[6:7], s[8:9], v15, s18, 0
	v_mov_b32_e32 v16, v7
	v_mad_u64_u32 v[16:17], s[8:9], v15, s19, v[16:17]
	v_mov_b32_e32 v7, v16
	v_lshlrev_b64 v[6:7], 1, v[6:7]
	v_add_co_u32_e32 v6, vcc, v13, v6
	v_addc_co_u32_e32 v7, vcc, v14, v7, vcc
.LBB2_39:
	global_load_ushort v6, v[6:7], off
	s_waitcnt vmcnt(0)
	v_and_b32_e32 v6, 0x7fff, v6
	v_cmp_ne_u16_e32 vcc, 0, v6
	v_addc_co_u32_e32 v0, vcc, 0, v0, vcc
.LBB2_40:
	s_or_b64 exec, exec, s[6:7]
	v_or_b32_e32 v15, 2, v8
	v_cmp_gt_i32_e32 vcc, s14, v15
	s_and_saveexec_b64 s[6:7], vcc
	s_cbranch_execz .LBB2_46
; %bb.41:
	s_andn2_b64 vcc, exec, s[0:1]
	s_cbranch_vccnz .LBB2_43
; %bb.42:
	v_add_co_u32_e32 v6, vcc, 4, v4
	v_addc_co_u32_e32 v7, vcc, 0, v5, vcc
	s_cbranch_execz .LBB2_44
	s_branch .LBB2_45
.LBB2_43:
                                        ; implicit-def: $vgpr6_vgpr7
.LBB2_44:
	v_mad_u64_u32 v[6:7], s[8:9], v15, s18, 0
	v_mov_b32_e32 v16, v7
	v_mad_u64_u32 v[16:17], s[8:9], v15, s19, v[16:17]
	v_mov_b32_e32 v7, v16
	v_lshlrev_b64 v[6:7], 1, v[6:7]
	v_add_co_u32_e32 v6, vcc, v13, v6
	v_addc_co_u32_e32 v7, vcc, v14, v7, vcc
.LBB2_45:
	global_load_ushort v6, v[6:7], off
	s_waitcnt vmcnt(0)
	v_and_b32_e32 v6, 0x7fff, v6
	v_cmp_ne_u16_e32 vcc, 0, v6
	v_addc_co_u32_e32 v0, vcc, 0, v0, vcc
.LBB2_46:
	s_or_b64 exec, exec, s[6:7]
	v_or_b32_e32 v6, 3, v8
	v_cmp_gt_i32_e32 vcc, s14, v6
	s_and_saveexec_b64 s[6:7], vcc
	s_cbranch_execz .LBB2_52
; %bb.47:
	s_andn2_b64 vcc, exec, s[0:1]
	s_cbranch_vccnz .LBB2_49
; %bb.48:
	v_add_co_u32_e32 v4, vcc, 6, v4
	v_addc_co_u32_e32 v5, vcc, 0, v5, vcc
	s_cbranch_execz .LBB2_50
	s_branch .LBB2_51
.LBB2_49:
                                        ; implicit-def: $vgpr4_vgpr5
.LBB2_50:
	v_mad_u64_u32 v[4:5], s[8:9], v6, s18, 0
	v_mov_b32_e32 v16, v5
	v_mad_u64_u32 v[6:7], s[8:9], v6, s19, v[16:17]
	v_mov_b32_e32 v5, v6
	v_lshlrev_b64 v[4:5], 1, v[4:5]
	v_add_co_u32_e32 v4, vcc, v13, v4
	v_addc_co_u32_e32 v5, vcc, v14, v5, vcc
.LBB2_51:
	global_load_ushort v4, v[4:5], off
	s_waitcnt vmcnt(0)
	v_and_b32_e32 v4, 0x7fff, v4
	v_cmp_ne_u16_e32 vcc, 0, v4
	v_addc_co_u32_e32 v0, vcc, 0, v0, vcc
.LBB2_52:
	s_or_b64 exec, exec, s[6:7]
.LBB2_53:
	s_or_b64 exec, exec, s[4:5]
	v_cmp_gt_i32_e32 vcc, s13, v28
	s_and_saveexec_b64 s[4:5], vcc
	s_cbranch_execz .LBB2_77
; %bb.54:
	v_ashrrev_i32_e32 v4, 31, v28
	v_mul_lo_u32 v6, v28, s19
	v_mul_lo_u32 v7, v4, s18
	v_mad_u64_u32 v[4:5], s[6:7], v28, s18, 0
	v_add3_u32 v5, v5, v6, v7
	v_lshlrev_b64 v[4:5], 1, v[4:5]
	v_add_co_u32_e32 v4, vcc, v9, v4
	v_addc_co_u32_e32 v5, vcc, v12, v5, vcc
	v_lshlrev_b64 v[6:7], 1, v[10:11]
	v_mov_b32_e32 v14, s17
	v_add_co_u32_e32 v13, vcc, s16, v6
	v_addc_co_u32_e32 v14, vcc, v14, v7, vcc
	v_cmp_gt_i32_e32 vcc, s14, v8
	s_and_saveexec_b64 s[6:7], vcc
	s_cbranch_execz .LBB2_58
; %bb.55:
	s_andn2_b64 vcc, exec, s[2:3]
	v_pk_mov_b32 v[6:7], v[4:5], v[4:5] op_sel:[0,1]
	s_cbranch_vccnz .LBB2_57
; %bb.56:
	v_mad_u64_u32 v[6:7], s[8:9], v8, s18, 0
	v_mov_b32_e32 v16, v7
	v_mad_u64_u32 v[16:17], s[8:9], v8, s19, v[16:17]
	v_mov_b32_e32 v7, v16
	v_lshlrev_b64 v[6:7], 1, v[6:7]
	v_add_co_u32_e32 v6, vcc, v13, v6
	v_addc_co_u32_e32 v7, vcc, v14, v7, vcc
	v_add_co_u32_e32 v6, vcc, 0x80, v6
	v_addc_co_u32_e32 v7, vcc, 0, v7, vcc
.LBB2_57:
	global_load_ushort v6, v[6:7], off
	s_waitcnt vmcnt(0)
	v_and_b32_e32 v6, 0x7fff, v6
	v_cmp_ne_u16_e32 vcc, 0, v6
	v_addc_co_u32_e32 v1, vcc, 0, v1, vcc
.LBB2_58:
	s_or_b64 exec, exec, s[6:7]
	v_or_b32_e32 v15, 1, v8
	v_cmp_gt_i32_e32 vcc, s14, v15
	s_and_saveexec_b64 s[6:7], vcc
	s_cbranch_execz .LBB2_64
; %bb.59:
	s_andn2_b64 vcc, exec, s[0:1]
	s_cbranch_vccnz .LBB2_61
; %bb.60:
	v_add_co_u32_e32 v6, vcc, 2, v4
	v_addc_co_u32_e32 v7, vcc, 0, v5, vcc
	s_cbranch_execz .LBB2_62
	s_branch .LBB2_63
.LBB2_61:
                                        ; implicit-def: $vgpr6_vgpr7
.LBB2_62:
	v_mad_u64_u32 v[6:7], s[8:9], v15, s18, 0
	v_mov_b32_e32 v16, v7
	v_mad_u64_u32 v[16:17], s[8:9], v15, s19, v[16:17]
	v_mov_b32_e32 v7, v16
	v_lshlrev_b64 v[6:7], 1, v[6:7]
	v_add_co_u32_e32 v6, vcc, v13, v6
	v_addc_co_u32_e32 v7, vcc, v14, v7, vcc
	v_add_co_u32_e32 v6, vcc, 0x80, v6
	v_addc_co_u32_e32 v7, vcc, 0, v7, vcc
.LBB2_63:
	global_load_ushort v6, v[6:7], off
	s_waitcnt vmcnt(0)
	v_and_b32_e32 v6, 0x7fff, v6
	v_cmp_ne_u16_e32 vcc, 0, v6
	v_addc_co_u32_e32 v1, vcc, 0, v1, vcc
.LBB2_64:
	s_or_b64 exec, exec, s[6:7]
	v_or_b32_e32 v15, 2, v8
	v_cmp_gt_i32_e32 vcc, s14, v15
	s_and_saveexec_b64 s[6:7], vcc
	s_cbranch_execz .LBB2_70
; %bb.65:
	s_andn2_b64 vcc, exec, s[0:1]
	s_cbranch_vccnz .LBB2_67
; %bb.66:
	v_add_co_u32_e32 v6, vcc, 4, v4
	v_addc_co_u32_e32 v7, vcc, 0, v5, vcc
	s_cbranch_execz .LBB2_68
	s_branch .LBB2_69
.LBB2_67:
                                        ; implicit-def: $vgpr6_vgpr7
.LBB2_68:
	v_mad_u64_u32 v[6:7], s[8:9], v15, s18, 0
	v_mov_b32_e32 v16, v7
	v_mad_u64_u32 v[16:17], s[8:9], v15, s19, v[16:17]
	v_mov_b32_e32 v7, v16
	v_lshlrev_b64 v[6:7], 1, v[6:7]
	v_add_co_u32_e32 v6, vcc, v13, v6
	v_addc_co_u32_e32 v7, vcc, v14, v7, vcc
	v_add_co_u32_e32 v6, vcc, 0x80, v6
	v_addc_co_u32_e32 v7, vcc, 0, v7, vcc
.LBB2_69:
	global_load_ushort v6, v[6:7], off
	s_waitcnt vmcnt(0)
	v_and_b32_e32 v6, 0x7fff, v6
	v_cmp_ne_u16_e32 vcc, 0, v6
	v_addc_co_u32_e32 v1, vcc, 0, v1, vcc
.LBB2_70:
	s_or_b64 exec, exec, s[6:7]
	v_or_b32_e32 v6, 3, v8
	v_cmp_gt_i32_e32 vcc, s14, v6
	s_and_saveexec_b64 s[6:7], vcc
	s_cbranch_execz .LBB2_76
; %bb.71:
	s_andn2_b64 vcc, exec, s[0:1]
	s_cbranch_vccnz .LBB2_73
; %bb.72:
	v_add_co_u32_e32 v4, vcc, 6, v4
	v_addc_co_u32_e32 v5, vcc, 0, v5, vcc
	s_cbranch_execz .LBB2_74
	s_branch .LBB2_75
.LBB2_73:
                                        ; implicit-def: $vgpr4_vgpr5
.LBB2_74:
	v_mad_u64_u32 v[4:5], s[8:9], v6, s18, 0
	v_mov_b32_e32 v16, v5
	v_mad_u64_u32 v[6:7], s[8:9], v6, s19, v[16:17]
	v_mov_b32_e32 v5, v6
	v_lshlrev_b64 v[4:5], 1, v[4:5]
	v_add_co_u32_e32 v4, vcc, v13, v4
	v_addc_co_u32_e32 v5, vcc, v14, v5, vcc
	v_add_co_u32_e32 v4, vcc, 0x80, v4
	v_addc_co_u32_e32 v5, vcc, 0, v5, vcc
.LBB2_75:
	global_load_ushort v4, v[4:5], off
	s_waitcnt vmcnt(0)
	v_and_b32_e32 v4, 0x7fff, v4
	v_cmp_ne_u16_e32 vcc, 0, v4
	v_addc_co_u32_e32 v1, vcc, 0, v1, vcc
.LBB2_76:
	s_or_b64 exec, exec, s[6:7]
.LBB2_77:
	s_or_b64 exec, exec, s[4:5]
	v_or_b32_e32 v4, 0x80, v10
	v_cmp_gt_i32_e32 vcc, s13, v4
	s_and_saveexec_b64 s[4:5], vcc
	s_cbranch_execz .LBB2_101
; %bb.78:
	v_ashrrev_i32_e32 v5, 31, v4
	v_mul_lo_u32 v6, v4, s19
	v_mul_lo_u32 v7, v5, s18
	v_mad_u64_u32 v[4:5], s[6:7], v4, s18, 0
	v_add3_u32 v5, v5, v6, v7
	v_lshlrev_b64 v[4:5], 1, v[4:5]
	v_add_co_u32_e32 v4, vcc, v9, v4
	v_addc_co_u32_e32 v5, vcc, v12, v5, vcc
	v_lshlrev_b64 v[6:7], 1, v[10:11]
	v_mov_b32_e32 v14, s17
	v_add_co_u32_e32 v13, vcc, s16, v6
	v_addc_co_u32_e32 v14, vcc, v14, v7, vcc
	v_cmp_gt_i32_e32 vcc, s14, v8
	s_and_saveexec_b64 s[6:7], vcc
	s_cbranch_execz .LBB2_82
; %bb.79:
	s_andn2_b64 vcc, exec, s[2:3]
	v_pk_mov_b32 v[6:7], v[4:5], v[4:5] op_sel:[0,1]
	s_cbranch_vccnz .LBB2_81
; %bb.80:
	v_mad_u64_u32 v[6:7], s[8:9], v8, s18, 0
	v_mov_b32_e32 v16, v7
	v_mad_u64_u32 v[16:17], s[8:9], v8, s19, v[16:17]
	v_mov_b32_e32 v7, v16
	v_lshlrev_b64 v[6:7], 1, v[6:7]
	v_add_co_u32_e32 v6, vcc, v13, v6
	v_addc_co_u32_e32 v7, vcc, v14, v7, vcc
	v_add_co_u32_e32 v6, vcc, 0x100, v6
	v_addc_co_u32_e32 v7, vcc, 0, v7, vcc
.LBB2_81:
	global_load_ushort v6, v[6:7], off
	s_waitcnt vmcnt(0)
	v_and_b32_e32 v6, 0x7fff, v6
	v_cmp_ne_u16_e32 vcc, 0, v6
	v_addc_co_u32_e32 v2, vcc, 0, v2, vcc
.LBB2_82:
	s_or_b64 exec, exec, s[6:7]
	v_or_b32_e32 v15, 1, v8
	v_cmp_gt_i32_e32 vcc, s14, v15
	s_and_saveexec_b64 s[6:7], vcc
	s_cbranch_execz .LBB2_88
; %bb.83:
	s_andn2_b64 vcc, exec, s[0:1]
	s_cbranch_vccnz .LBB2_85
; %bb.84:
	v_add_co_u32_e32 v6, vcc, 2, v4
	v_addc_co_u32_e32 v7, vcc, 0, v5, vcc
	s_cbranch_execz .LBB2_86
	s_branch .LBB2_87
.LBB2_85:
                                        ; implicit-def: $vgpr6_vgpr7
.LBB2_86:
	v_mad_u64_u32 v[6:7], s[8:9], v15, s18, 0
	v_mov_b32_e32 v16, v7
	v_mad_u64_u32 v[16:17], s[8:9], v15, s19, v[16:17]
	v_mov_b32_e32 v7, v16
	v_lshlrev_b64 v[6:7], 1, v[6:7]
	v_add_co_u32_e32 v6, vcc, v13, v6
	v_addc_co_u32_e32 v7, vcc, v14, v7, vcc
	v_add_co_u32_e32 v6, vcc, 0x100, v6
	v_addc_co_u32_e32 v7, vcc, 0, v7, vcc
.LBB2_87:
	global_load_ushort v6, v[6:7], off
	s_waitcnt vmcnt(0)
	v_and_b32_e32 v6, 0x7fff, v6
	v_cmp_ne_u16_e32 vcc, 0, v6
	v_addc_co_u32_e32 v2, vcc, 0, v2, vcc
.LBB2_88:
	s_or_b64 exec, exec, s[6:7]
	v_or_b32_e32 v15, 2, v8
	v_cmp_gt_i32_e32 vcc, s14, v15
	s_and_saveexec_b64 s[6:7], vcc
	s_cbranch_execz .LBB2_94
; %bb.89:
	s_andn2_b64 vcc, exec, s[0:1]
	s_cbranch_vccnz .LBB2_91
; %bb.90:
	v_add_co_u32_e32 v6, vcc, 4, v4
	v_addc_co_u32_e32 v7, vcc, 0, v5, vcc
	s_cbranch_execz .LBB2_92
	s_branch .LBB2_93
.LBB2_91:
                                        ; implicit-def: $vgpr6_vgpr7
.LBB2_92:
	v_mad_u64_u32 v[6:7], s[8:9], v15, s18, 0
	v_mov_b32_e32 v16, v7
	v_mad_u64_u32 v[16:17], s[8:9], v15, s19, v[16:17]
	v_mov_b32_e32 v7, v16
	v_lshlrev_b64 v[6:7], 1, v[6:7]
	v_add_co_u32_e32 v6, vcc, v13, v6
	v_addc_co_u32_e32 v7, vcc, v14, v7, vcc
	v_add_co_u32_e32 v6, vcc, 0x100, v6
	v_addc_co_u32_e32 v7, vcc, 0, v7, vcc
.LBB2_93:
	global_load_ushort v6, v[6:7], off
	s_waitcnt vmcnt(0)
	v_and_b32_e32 v6, 0x7fff, v6
	v_cmp_ne_u16_e32 vcc, 0, v6
	v_addc_co_u32_e32 v2, vcc, 0, v2, vcc
.LBB2_94:
	s_or_b64 exec, exec, s[6:7]
	v_or_b32_e32 v6, 3, v8
	v_cmp_gt_i32_e32 vcc, s14, v6
	s_and_saveexec_b64 s[6:7], vcc
	s_cbranch_execz .LBB2_100
; %bb.95:
	s_andn2_b64 vcc, exec, s[0:1]
	s_cbranch_vccnz .LBB2_97
; %bb.96:
	v_add_co_u32_e32 v4, vcc, 6, v4
	v_addc_co_u32_e32 v5, vcc, 0, v5, vcc
	s_cbranch_execz .LBB2_98
	s_branch .LBB2_99
.LBB2_97:
                                        ; implicit-def: $vgpr4_vgpr5
.LBB2_98:
	v_mad_u64_u32 v[4:5], s[8:9], v6, s18, 0
	v_mov_b32_e32 v16, v5
	v_mad_u64_u32 v[6:7], s[8:9], v6, s19, v[16:17]
	v_mov_b32_e32 v5, v6
	v_lshlrev_b64 v[4:5], 1, v[4:5]
	v_add_co_u32_e32 v4, vcc, v13, v4
	v_addc_co_u32_e32 v5, vcc, v14, v5, vcc
	v_add_co_u32_e32 v4, vcc, 0x100, v4
	v_addc_co_u32_e32 v5, vcc, 0, v5, vcc
.LBB2_99:
	global_load_ushort v4, v[4:5], off
	s_waitcnt vmcnt(0)
	v_and_b32_e32 v4, 0x7fff, v4
	v_cmp_ne_u16_e32 vcc, 0, v4
	v_addc_co_u32_e32 v2, vcc, 0, v2, vcc
.LBB2_100:
	s_or_b64 exec, exec, s[6:7]
.LBB2_101:
	s_or_b64 exec, exec, s[4:5]
	v_or_b32_e32 v4, 0xc0, v10
	v_cmp_gt_i32_e32 vcc, s13, v4
	s_and_saveexec_b64 s[4:5], vcc
	s_cbranch_execz .LBB2_125
; %bb.102:
	v_ashrrev_i32_e32 v5, 31, v4
	v_mul_lo_u32 v6, v4, s19
	v_mul_lo_u32 v7, v5, s18
	v_mad_u64_u32 v[4:5], s[6:7], v4, s18, 0
	v_add3_u32 v5, v5, v6, v7
	v_lshlrev_b64 v[4:5], 1, v[4:5]
	v_add_co_u32_e32 v4, vcc, v9, v4
	v_addc_co_u32_e32 v5, vcc, v12, v5, vcc
	v_lshlrev_b64 v[6:7], 1, v[10:11]
	v_mov_b32_e32 v10, s17
	v_add_co_u32_e32 v9, vcc, s16, v6
	v_addc_co_u32_e32 v10, vcc, v10, v7, vcc
	v_cmp_gt_i32_e32 vcc, s14, v8
	s_and_saveexec_b64 s[6:7], vcc
	s_cbranch_execz .LBB2_106
; %bb.103:
	s_andn2_b64 vcc, exec, s[2:3]
	v_pk_mov_b32 v[6:7], v[4:5], v[4:5] op_sel:[0,1]
	s_cbranch_vccnz .LBB2_105
; %bb.104:
	v_mad_u64_u32 v[6:7], s[2:3], v8, s18, 0
	v_mov_b32_e32 v12, v7
	v_mad_u64_u32 v[12:13], s[2:3], v8, s19, v[12:13]
	v_mov_b32_e32 v7, v12
	v_lshlrev_b64 v[6:7], 1, v[6:7]
	v_add_co_u32_e32 v6, vcc, v9, v6
	v_addc_co_u32_e32 v7, vcc, v10, v7, vcc
	v_add_co_u32_e32 v6, vcc, 0x180, v6
	v_addc_co_u32_e32 v7, vcc, 0, v7, vcc
.LBB2_105:
	global_load_ushort v6, v[6:7], off
	s_waitcnt vmcnt(0)
	v_and_b32_e32 v6, 0x7fff, v6
	v_cmp_ne_u16_e32 vcc, 0, v6
	v_addc_co_u32_e32 v3, vcc, 0, v3, vcc
.LBB2_106:
	s_or_b64 exec, exec, s[6:7]
	v_or_b32_e32 v11, 1, v8
	v_cndmask_b32_e64 v6, 0, 1, s[0:1]
	v_cmp_gt_i32_e32 vcc, s14, v11
	v_cmp_ne_u32_e64 s[0:1], 1, v6
	s_and_saveexec_b64 s[2:3], vcc
	s_cbranch_execz .LBB2_112
; %bb.107:
	s_and_b64 vcc, exec, s[0:1]
	s_cbranch_vccnz .LBB2_109
; %bb.108:
	v_add_co_u32_e32 v6, vcc, 2, v4
	v_addc_co_u32_e32 v7, vcc, 0, v5, vcc
	s_cbranch_execz .LBB2_110
	s_branch .LBB2_111
.LBB2_109:
                                        ; implicit-def: $vgpr6_vgpr7
.LBB2_110:
	v_mad_u64_u32 v[6:7], s[6:7], v11, s18, 0
	v_mov_b32_e32 v12, v7
	v_mad_u64_u32 v[12:13], s[6:7], v11, s19, v[12:13]
	v_mov_b32_e32 v7, v12
	v_lshlrev_b64 v[6:7], 1, v[6:7]
	v_add_co_u32_e32 v6, vcc, v9, v6
	v_addc_co_u32_e32 v7, vcc, v10, v7, vcc
	v_add_co_u32_e32 v6, vcc, 0x180, v6
	v_addc_co_u32_e32 v7, vcc, 0, v7, vcc
.LBB2_111:
	global_load_ushort v6, v[6:7], off
	s_waitcnt vmcnt(0)
	v_and_b32_e32 v6, 0x7fff, v6
	v_cmp_ne_u16_e32 vcc, 0, v6
	v_addc_co_u32_e32 v3, vcc, 0, v3, vcc
.LBB2_112:
	s_or_b64 exec, exec, s[2:3]
	v_or_b32_e32 v11, 2, v8
	v_cmp_gt_i32_e32 vcc, s14, v11
	s_and_saveexec_b64 s[2:3], vcc
	s_cbranch_execz .LBB2_118
; %bb.113:
	s_and_b64 vcc, exec, s[0:1]
	s_cbranch_vccnz .LBB2_115
; %bb.114:
	v_add_co_u32_e32 v6, vcc, 4, v4
	v_addc_co_u32_e32 v7, vcc, 0, v5, vcc
	s_cbranch_execz .LBB2_116
	s_branch .LBB2_117
.LBB2_115:
                                        ; implicit-def: $vgpr6_vgpr7
.LBB2_116:
	v_mad_u64_u32 v[6:7], s[6:7], v11, s18, 0
	v_mov_b32_e32 v12, v7
	v_mad_u64_u32 v[12:13], s[6:7], v11, s19, v[12:13]
	v_mov_b32_e32 v7, v12
	v_lshlrev_b64 v[6:7], 1, v[6:7]
	v_add_co_u32_e32 v6, vcc, v9, v6
	v_addc_co_u32_e32 v7, vcc, v10, v7, vcc
	v_add_co_u32_e32 v6, vcc, 0x180, v6
	v_addc_co_u32_e32 v7, vcc, 0, v7, vcc
.LBB2_117:
	global_load_ushort v6, v[6:7], off
	s_waitcnt vmcnt(0)
	v_and_b32_e32 v6, 0x7fff, v6
	v_cmp_ne_u16_e32 vcc, 0, v6
	v_addc_co_u32_e32 v3, vcc, 0, v3, vcc
.LBB2_118:
	s_or_b64 exec, exec, s[2:3]
	v_or_b32_e32 v6, 3, v8
	v_cmp_gt_i32_e32 vcc, s14, v6
	s_and_saveexec_b64 s[2:3], vcc
	s_cbranch_execz .LBB2_124
; %bb.119:
	s_and_b64 vcc, exec, s[0:1]
	s_cbranch_vccnz .LBB2_121
; %bb.120:
	v_add_co_u32_e32 v4, vcc, 6, v4
	v_addc_co_u32_e32 v5, vcc, 0, v5, vcc
	s_cbranch_execz .LBB2_122
	s_branch .LBB2_123
.LBB2_121:
                                        ; implicit-def: $vgpr4_vgpr5
.LBB2_122:
	v_mad_u64_u32 v[4:5], s[0:1], v6, s18, 0
	v_mov_b32_e32 v8, v5
	v_mad_u64_u32 v[6:7], s[0:1], v6, s19, v[8:9]
	v_mov_b32_e32 v5, v6
	v_lshlrev_b64 v[4:5], 1, v[4:5]
	v_add_co_u32_e32 v4, vcc, v9, v4
	v_addc_co_u32_e32 v5, vcc, v10, v5, vcc
	v_add_co_u32_e32 v4, vcc, 0x180, v4
	v_addc_co_u32_e32 v5, vcc, 0, v5, vcc
.LBB2_123:
	global_load_ushort v4, v[4:5], off
	s_waitcnt vmcnt(0)
	v_and_b32_e32 v4, 0x7fff, v4
	v_cmp_ne_u16_e32 vcc, 0, v4
	v_addc_co_u32_e32 v3, vcc, 0, v3, vcc
.LBB2_124:
	s_or_b64 exec, exec, s[2:3]
.LBB2_125:
	s_or_b64 exec, exec, s[4:5]
.LBB2_126:
	v_lshlrev_b32_e32 v4, 2, v25
	s_mov_b32 s0, 0x1fffff00
	v_and_or_b32 v5, v4, s0, v27
	s_movk_i32 s0, 0x100
	v_lshlrev_b32_e32 v5, 2, v5
	v_cmp_gt_u32_e32 vcc, s0, v25
	ds_write2st64_b32 v5, v0, v1 offset1:1
	ds_write2st64_b32 v5, v2, v3 offset0:2 offset1:3
	s_waitcnt lgkmcnt(0)
	s_barrier
	s_and_saveexec_b64 s[0:1], vcc
	s_cbranch_execz .LBB2_129
; %bb.127:
	ds_read2st64_b32 v[2:3], v4 offset1:4
	ds_read2st64_b32 v[6:7], v4 offset0:8 offset1:12
	ds_read2st64_b32 v[8:9], v4 offset0:16 offset1:20
	;; [unrolled: 1-line block ×3, first 2 shown]
	v_add_u32_e32 v0, s15, v25
	s_waitcnt lgkmcnt(3)
	v_add_u32_e32 v1, v2, v3
	s_waitcnt lgkmcnt(2)
	v_add3_u32 v1, v1, v6, v7
	s_waitcnt lgkmcnt(1)
	v_add3_u32 v1, v1, v8, v9
	ds_read2st64_b32 v[2:3], v4 offset0:32 offset1:36
	ds_read2st64_b32 v[6:7], v4 offset0:40 offset1:44
	;; [unrolled: 1-line block ×4, first 2 shown]
	s_waitcnt lgkmcnt(4)
	v_add3_u32 v1, v1, v10, v11
	s_waitcnt lgkmcnt(3)
	v_add3_u32 v1, v1, v2, v3
	;; [unrolled: 2-line block ×5, first 2 shown]
	v_cmp_gt_i32_e32 vcc, s13, v0
	ds_write_b32 v4, v2
	s_and_b64 exec, exec, vcc
	s_cbranch_execz .LBB2_129
; %bb.128:
	v_ashrrev_i32_e32 v1, 31, v0
	v_lshlrev_b64 v[0:1], 2, v[0:1]
	v_mov_b32_e32 v3, s21
	v_add_co_u32_e32 v0, vcc, s20, v0
	v_addc_co_u32_e32 v1, vcc, v3, v1, vcc
	global_store_dword v[0:1], v2, off
.LBB2_129:
	s_endpgm
	.section	.rodata,"a",@progbits
	.p2align	6, 0x0
	.amdhsa_kernel _ZN9rocsparseL14nnz_kernel_rowILi64ELi16Eii18rocsparse_bfloat16EEv16rocsparse_order_T2_S3_PKT3_lPT1_
		.amdhsa_group_segment_fixed_size 16384
		.amdhsa_private_segment_fixed_size 0
		.amdhsa_kernarg_size 296
		.amdhsa_user_sgpr_count 6
		.amdhsa_user_sgpr_private_segment_buffer 1
		.amdhsa_user_sgpr_dispatch_ptr 0
		.amdhsa_user_sgpr_queue_ptr 0
		.amdhsa_user_sgpr_kernarg_segment_ptr 1
		.amdhsa_user_sgpr_dispatch_id 0
		.amdhsa_user_sgpr_flat_scratch_init 0
		.amdhsa_user_sgpr_kernarg_preload_length 0
		.amdhsa_user_sgpr_kernarg_preload_offset 0
		.amdhsa_user_sgpr_private_segment_size 0
		.amdhsa_uses_dynamic_stack 0
		.amdhsa_system_sgpr_private_segment_wavefront_offset 0
		.amdhsa_system_sgpr_workgroup_id_x 1
		.amdhsa_system_sgpr_workgroup_id_y 0
		.amdhsa_system_sgpr_workgroup_id_z 0
		.amdhsa_system_sgpr_workgroup_info 0
		.amdhsa_system_vgpr_workitem_id 1
		.amdhsa_next_free_vgpr 38
		.amdhsa_next_free_sgpr 35
		.amdhsa_accum_offset 40
		.amdhsa_reserve_vcc 1
		.amdhsa_reserve_flat_scratch 0
		.amdhsa_float_round_mode_32 0
		.amdhsa_float_round_mode_16_64 0
		.amdhsa_float_denorm_mode_32 3
		.amdhsa_float_denorm_mode_16_64 3
		.amdhsa_dx10_clamp 1
		.amdhsa_ieee_mode 1
		.amdhsa_fp16_overflow 0
		.amdhsa_tg_split 0
		.amdhsa_exception_fp_ieee_invalid_op 0
		.amdhsa_exception_fp_denorm_src 0
		.amdhsa_exception_fp_ieee_div_zero 0
		.amdhsa_exception_fp_ieee_overflow 0
		.amdhsa_exception_fp_ieee_underflow 0
		.amdhsa_exception_fp_ieee_inexact 0
		.amdhsa_exception_int_div_zero 0
	.end_amdhsa_kernel
	.section	.text._ZN9rocsparseL14nnz_kernel_rowILi64ELi16Eii18rocsparse_bfloat16EEv16rocsparse_order_T2_S3_PKT3_lPT1_,"axG",@progbits,_ZN9rocsparseL14nnz_kernel_rowILi64ELi16Eii18rocsparse_bfloat16EEv16rocsparse_order_T2_S3_PKT3_lPT1_,comdat
.Lfunc_end2:
	.size	_ZN9rocsparseL14nnz_kernel_rowILi64ELi16Eii18rocsparse_bfloat16EEv16rocsparse_order_T2_S3_PKT3_lPT1_, .Lfunc_end2-_ZN9rocsparseL14nnz_kernel_rowILi64ELi16Eii18rocsparse_bfloat16EEv16rocsparse_order_T2_S3_PKT3_lPT1_
                                        ; -- End function
	.section	.AMDGPU.csdata,"",@progbits
; Kernel info:
; codeLenInByte = 4784
; NumSgprs: 39
; NumVgprs: 38
; NumAgprs: 0
; TotalNumVgprs: 38
; ScratchSize: 0
; MemoryBound: 0
; FloatMode: 240
; IeeeMode: 1
; LDSByteSize: 16384 bytes/workgroup (compile time only)
; SGPRBlocks: 4
; VGPRBlocks: 4
; NumSGPRsForWavesPerEU: 39
; NumVGPRsForWavesPerEU: 38
; AccumOffset: 40
; Occupancy: 8
; WaveLimiterHint : 0
; COMPUTE_PGM_RSRC2:SCRATCH_EN: 0
; COMPUTE_PGM_RSRC2:USER_SGPR: 6
; COMPUTE_PGM_RSRC2:TRAP_HANDLER: 0
; COMPUTE_PGM_RSRC2:TGID_X_EN: 1
; COMPUTE_PGM_RSRC2:TGID_Y_EN: 0
; COMPUTE_PGM_RSRC2:TGID_Z_EN: 0
; COMPUTE_PGM_RSRC2:TIDIG_COMP_CNT: 1
; COMPUTE_PGM_RSRC3_GFX90A:ACCUM_OFFSET: 9
; COMPUTE_PGM_RSRC3_GFX90A:TG_SPLIT: 0
	.section	.text._ZN9rocsparseL14nnz_kernel_colILi256Eii18rocsparse_bfloat16EEv16rocsparse_order_T1_S3_PKT2_lPT0_,"axG",@progbits,_ZN9rocsparseL14nnz_kernel_colILi256Eii18rocsparse_bfloat16EEv16rocsparse_order_T1_S3_PKT2_lPT0_,comdat
	.globl	_ZN9rocsparseL14nnz_kernel_colILi256Eii18rocsparse_bfloat16EEv16rocsparse_order_T1_S3_PKT2_lPT0_ ; -- Begin function _ZN9rocsparseL14nnz_kernel_colILi256Eii18rocsparse_bfloat16EEv16rocsparse_order_T1_S3_PKT2_lPT0_
	.p2align	8
	.type	_ZN9rocsparseL14nnz_kernel_colILi256Eii18rocsparse_bfloat16EEv16rocsparse_order_T1_S3_PKT2_lPT0_,@function
_ZN9rocsparseL14nnz_kernel_colILi256Eii18rocsparse_bfloat16EEv16rocsparse_order_T1_S3_PKT2_lPT0_: ; @_ZN9rocsparseL14nnz_kernel_colILi256Eii18rocsparse_bfloat16EEv16rocsparse_order_T1_S3_PKT2_lPT0_
; %bb.0:
	s_load_dwordx2 s[8:9], s[4:5], 0x0
	s_load_dwordx4 s[0:3], s[4:5], 0x10
	s_waitcnt lgkmcnt(0)
	s_ashr_i32 s7, s9, 31
	s_lshr_b32 s7, s7, 24
	s_add_i32 s7, s9, s7
	s_and_b32 s10, s7, 0xffffff00
	s_cmp_eq_u32 s8, 1
	s_cbranch_scc1 .LBB3_6
; %bb.1:
	s_cmpk_lt_i32 s9, 0x100
	v_mov_b32_e32 v1, 0
	s_cbranch_scc1 .LBB3_7
; %bb.2:
	v_mad_u64_u32 v[2:3], s[12:13], s2, v0, 0
	v_mov_b32_e32 v4, v3
	s_ashr_i32 s7, s6, 31
	v_mad_u64_u32 v[4:5], s[12:13], s3, v0, v[4:5]
	s_lshl_b64 s[12:13], s[6:7], 1
	v_mov_b32_e32 v3, v4
	s_add_u32 s7, s0, s12
	v_lshlrev_b64 v[2:3], 1, v[2:3]
	s_addc_u32 s8, s1, s13
	v_mov_b32_e32 v1, s8
	v_add_co_u32_e32 v2, vcc, s7, v2
	s_lshl_b64 s[12:13], s[2:3], 9
	v_addc_co_u32_e32 v3, vcc, v1, v3, vcc
	s_mov_b32 s7, 0
	v_mov_b32_e32 v1, 0
	v_mov_b32_e32 v4, s13
	s_branch .LBB3_4
.LBB3_3:                                ;   in Loop: Header=BB3_4 Depth=1
	s_or_b64 exec, exec, s[14:15]
	s_addk_i32 s7, 0x100
	v_add_co_u32_e32 v2, vcc, s12, v2
	s_cmp_ge_i32 s7, s10
	v_addc_co_u32_e32 v3, vcc, v3, v4, vcc
	s_cbranch_scc1 .LBB3_7
.LBB3_4:                                ; =>This Inner Loop Header: Depth=1
	v_add_u32_e32 v5, s7, v0
	v_cmp_gt_i32_e32 vcc, s9, v5
	s_and_saveexec_b64 s[14:15], vcc
	s_cbranch_execz .LBB3_3
; %bb.5:                                ;   in Loop: Header=BB3_4 Depth=1
	global_load_ushort v5, v[2:3], off
	s_waitcnt vmcnt(0)
	v_and_b32_e32 v5, 0x7fff, v5
	v_cmp_ne_u16_e32 vcc, 0, v5
	v_addc_co_u32_e32 v1, vcc, 0, v1, vcc
	s_branch .LBB3_3
.LBB3_6:
	s_mov_b64 s[12:13], 0
                                        ; implicit-def: $vgpr1
                                        ; implicit-def: $vgpr2_vgpr3
	s_cbranch_execnz .LBB3_10
	s_branch .LBB3_21
.LBB3_7:
	v_add_u32_e32 v4, s10, v0
	v_cmp_gt_i32_e32 vcc, s9, v4
	s_mov_b64 s[14:15], 0
	s_mov_b64 s[12:13], 0
                                        ; implicit-def: $vgpr2_vgpr3
	s_and_saveexec_b64 s[16:17], vcc
	s_xor_b64 s[16:17], exec, s[16:17]
	s_cbranch_execz .LBB3_9
; %bb.8:
	v_ashrrev_i32_e32 v2, 31, v4
	s_ashr_i32 s7, s6, 31
	v_mul_lo_u32 v6, v2, s2
	v_mad_u64_u32 v[2:3], s[18:19], v4, s2, 0
	v_mul_lo_u32 v5, v4, s3
	s_lshl_b64 s[18:19], s[6:7], 1
	v_add3_u32 v3, v3, v5, v6
	s_add_u32 s7, s18, s0
	v_lshlrev_b64 v[2:3], 1, v[2:3]
	s_addc_u32 s8, s19, s1
	v_mov_b32_e32 v4, s8
	v_add_co_u32_e32 v2, vcc, s7, v2
	s_mov_b64 s[12:13], exec
	v_addc_co_u32_e32 v3, vcc, v4, v3, vcc
.LBB3_9:
	s_or_b64 exec, exec, s[16:17]
	s_and_b64 vcc, exec, s[14:15]
	s_cbranch_vccz .LBB3_21
.LBB3_10:
	s_ashr_i32 s7, s6, 31
	s_mul_i32 s3, s6, s3
	s_mul_hi_u32 s8, s6, s2
	s_add_i32 s3, s8, s3
	s_mul_i32 s7, s7, s2
	s_add_i32 s3, s3, s7
	s_mul_i32 s2, s6, s2
	v_cmp_gt_i32_e32 vcc, s9, v0
	s_lshl_b64 s[2:3], s[2:3], 1
	v_cndmask_b32_e32 v2, 0, v0, vcc
	s_add_u32 s7, s0, s2
	s_addc_u32 s8, s1, s3
	v_lshlrev_b32_e32 v2, 1, v2
	v_mov_b32_e32 v3, s8
	v_add_co_u32_e32 v4, vcc, s7, v2
	v_mov_b32_e32 v1, 0
	s_mov_b32 s14, 0
	s_cmpk_lt_i32 s9, 0x100
	v_addc_co_u32_e32 v5, vcc, 0, v3, vcc
	s_cbranch_scc1 .LBB3_18
; %bb.11:
	s_max_i32 s7, s10, 0x100
	s_add_i32 s7, s7, -1
	s_cmpk_lg_i32 s7, 0xff
	v_mov_b32_e32 v1, 0
	s_cbranch_scc0 .LBB3_15
; %bb.12:
	s_lshr_b32 s7, s7, 8
	s_add_i32 s7, s7, 1
	s_and_b32 s8, s7, 0x1fffffe
	s_mov_b32 s17, 0
	s_movk_i32 s14, 0x100
	v_mov_b32_e32 v1, 0
	s_mov_b32 s11, 0x5040100
	s_mov_b32 s18, s8
	v_mov_b32_e32 v3, 0
	v_mov_b32_e32 v6, 0
	s_mov_b32 s16, s17
.LBB3_13:                               ; =>This Inner Loop Header: Depth=1
	s_lshl_b64 s[20:21], s[16:17], 1
	s_mov_b32 s15, s17
	v_mov_b32_e32 v7, s21
	v_add_co_u32_e32 v8, vcc, s20, v4
	s_lshl_b64 s[22:23], s[14:15], 1
	v_addc_co_u32_e32 v9, vcc, v5, v7, vcc
	v_mov_b32_e32 v7, s23
	v_add_co_u32_e32 v10, vcc, s22, v4
	v_addc_co_u32_e32 v11, vcc, v5, v7, vcc
	global_load_ushort v7, v[8:9], off
	global_load_ushort v12, v[10:11], off
	s_addk_i32 s16, 0x200
	s_add_i32 s18, s18, -2
	s_addk_i32 s14, 0x200
	s_cmp_lg_u32 s18, 0
	s_waitcnt vmcnt(0)
	v_perm_b32 v7, v12, v7, s11
	v_and_b32_e32 v7, 0x7fff7fff, v7
	v_cmp_ne_u16_e32 vcc, 0, v7
	v_addc_co_u32_e32 v3, vcc, 0, v3, vcc
	v_cmp_ne_u16_sdwa vcc, v7, v1 src0_sel:WORD_1 src1_sel:DWORD
	v_addc_co_u32_e32 v6, vcc, 0, v6, vcc
	s_cbranch_scc1 .LBB3_13
; %bb.14:
	s_lshl_b32 s14, s8, 8
	s_cmp_lg_u32 s7, s8
	v_add_u32_e32 v1, v3, v6
	s_cselect_b64 s[16:17], -1, 0
	s_and_b64 vcc, exec, s[16:17]
	s_cbranch_vccnz .LBB3_16
	s_branch .LBB3_18
.LBB3_15:
	s_cbranch_execz .LBB3_18
.LBB3_16:
	s_mov_b32 s15, 0
	s_lshl_b64 s[16:17], s[14:15], 1
	s_add_u32 s0, s0, s16
	s_addc_u32 s1, s1, s17
	s_add_u32 s0, s0, s2
	s_addc_u32 s1, s1, s3
	v_mov_b32_e32 v3, s1
	v_add_co_u32_e32 v2, vcc, s0, v2
	v_addc_co_u32_e32 v3, vcc, 0, v3, vcc
.LBB3_17:                               ; =>This Inner Loop Header: Depth=1
	global_load_ushort v6, v[2:3], off
	v_add_co_u32_e32 v2, vcc, 0x200, v2
	v_addc_co_u32_e32 v3, vcc, 0, v3, vcc
	s_addk_i32 s14, 0x100
	s_cmp_ge_i32 s14, s10
	s_waitcnt vmcnt(0)
	v_and_b32_e32 v6, 0x7fff, v6
	v_cmp_ne_u16_e32 vcc, 0, v6
	v_addc_co_u32_e32 v1, vcc, 0, v1, vcc
	s_cbranch_scc0 .LBB3_17
.LBB3_18:
	v_add_u32_e32 v2, s10, v0
	v_cmp_gt_i32_e32 vcc, s9, v2
                                        ; implicit-def: $vgpr2_vgpr3
	s_and_saveexec_b64 s[0:1], vcc
; %bb.19:
	s_ashr_i32 s11, s10, 31
	s_lshl_b64 s[2:3], s[10:11], 1
	v_mov_b32_e32 v3, s3
	v_add_co_u32_e32 v2, vcc, s2, v4
	v_addc_co_u32_e32 v3, vcc, v5, v3, vcc
	s_or_b64 s[12:13], s[12:13], exec
; %bb.20:
	s_or_b64 exec, exec, s[0:1]
.LBB3_21:
	s_and_saveexec_b64 s[0:1], s[12:13]
	s_cbranch_execz .LBB3_23
; %bb.22:
	global_load_ushort v2, v[2:3], off
	s_waitcnt vmcnt(0)
	v_and_b32_e32 v2, 0x7fff, v2
	v_cmp_ne_u16_e32 vcc, 0, v2
	v_addc_co_u32_e32 v1, vcc, 0, v1, vcc
.LBB3_23:
	s_or_b64 exec, exec, s[0:1]
	v_lshlrev_b32_e32 v3, 2, v0
	s_cmpk_lt_i32 s9, 0x100
	s_mov_b64 s[0:1], -1
	v_cmp_eq_u32_e32 vcc, 0, v0
	ds_write_b32 v3, v1
	s_waitcnt lgkmcnt(0)
	s_cbranch_scc1 .LBB3_27
; %bb.24:
	s_and_b64 vcc, exec, s[0:1]
	s_cbranch_vccnz .LBB3_42
.LBB3_25:
	v_cmp_eq_u32_e32 vcc, 0, v0
	s_and_saveexec_b64 s[0:1], vcc
	s_cbranch_execnz .LBB3_59
.LBB3_26:
	s_endpgm
.LBB3_27:
	s_cmp_gt_i32 s9, 1
	s_cselect_b64 s[0:1], -1, 0
	s_mov_b32 s7, 1
	s_and_b64 s[2:3], vcc, s[0:1]
	s_barrier
	s_and_saveexec_b64 s[0:1], s[2:3]
	s_cbranch_execz .LBB3_41
; %bb.28:
	v_mov_b32_e32 v1, 0
	ds_read_b32 v2, v1
	s_cmp_lt_u32 s9, 5
	s_cbranch_scc1 .LBB3_33
; %bb.29:
	s_add_i32 s8, s9, -5
	s_lshr_b32 s7, s8, 2
	s_add_i32 s7, s7, 1
	s_mov_b32 s2, 0
	s_cmp_lt_u32 s8, 28
	s_cbranch_scc1 .LBB3_34
; %bb.30:
	s_and_b32 s3, s7, 0x7ffffff8
	s_mov_b32 s8, 4
	v_mov_b32_e32 v1, 0
	v_mov_b32_e32 v4, 0
	v_mov_b32_e32 v5, 0
.LBB3_31:                               ; =>This Inner Loop Header: Depth=1
	v_mov_b32_e32 v36, s8
	ds_read2_b32 v[6:7], v36 offset1:1
	ds_read2_b32 v[8:9], v36 offset0:2 offset1:3
	ds_read2_b32 v[10:11], v36 offset0:4 offset1:5
	;; [unrolled: 1-line block ×15, first 2 shown]
	s_waitcnt lgkmcnt(14)
	v_add_u32_e32 v2, v2, v6
	v_add_u32_e32 v1, v1, v7
	;; [unrolled: 1-line block ×4, first 2 shown]
	s_waitcnt lgkmcnt(13)
	v_add_u32_e32 v1, v1, v11
	v_add_u32_e32 v2, v2, v10
	s_waitcnt lgkmcnt(12)
	v_add_u32_e32 v5, v5, v13
	v_add_u32_e32 v4, v4, v12
	;; [unrolled: 3-line block ×10, first 2 shown]
	s_add_i32 s2, s2, 32
	s_addk_i32 s8, 0x80
	s_add_i32 s3, s3, -8
	s_waitcnt lgkmcnt(3)
	v_add_u32_e32 v2, v2, v30
	v_add_u32_e32 v1, v1, v31
	s_waitcnt lgkmcnt(2)
	v_add_u32_e32 v4, v4, v32
	v_add_u32_e32 v5, v5, v33
	s_cmp_lg_u32 s3, 0
	s_waitcnt lgkmcnt(1)
	v_add_u32_e32 v1, v1, v35
	v_add_u32_e32 v2, v2, v34
	s_waitcnt lgkmcnt(0)
	v_add_u32_e32 v5, v5, v37
	v_add_u32_e32 v4, v4, v36
	s_cbranch_scc1 .LBB3_31
; %bb.32:
	s_and_b32 s3, s7, 7
	s_cmp_eq_u32 s3, 0
	s_cbranch_scc0 .LBB3_35
	s_branch .LBB3_37
.LBB3_33:
	s_cbranch_execnz .LBB3_38
	s_branch .LBB3_40
.LBB3_34:
	s_mov_b32 s3, s2
	v_pk_mov_b32 v[4:5], s[2:3], s[2:3] op_sel:[0,1]
	s_and_b32 s3, s7, 7
	s_cmp_eq_u32 s3, 0
	s_cbranch_scc1 .LBB3_37
.LBB3_35:
	s_lshl_b32 s2, s2, 2
	s_add_i32 s2, s2, 4
.LBB3_36:                               ; =>This Inner Loop Header: Depth=1
	v_mov_b32_e32 v8, s2
	ds_read2_b32 v[6:7], v8 offset1:1
	ds_read2_b32 v[8:9], v8 offset0:2 offset1:3
	s_add_i32 s2, s2, 16
	s_add_i32 s3, s3, -1
	s_cmp_lg_u32 s3, 0
	s_waitcnt lgkmcnt(1)
	v_add_u32_e32 v1, v1, v7
	v_add_u32_e32 v2, v2, v6
	s_waitcnt lgkmcnt(0)
	v_add_u32_e32 v5, v5, v9
	v_add_u32_e32 v4, v4, v8
	s_cbranch_scc1 .LBB3_36
.LBB3_37:
	s_add_i32 s2, s9, -1
	s_and_b32 s3, s2, -4
	s_or_b32 s7, s3, 1
	v_add_u32_e32 v1, v5, v1
	s_waitcnt lgkmcnt(0)
	v_add_u32_e32 v2, v4, v2
	s_cmp_lg_u32 s2, s3
	v_add_u32_e32 v2, v2, v1
	s_cselect_b64 s[2:3], -1, 0
	s_and_b64 vcc, exec, s[2:3]
	s_cbranch_vccz .LBB3_40
.LBB3_38:
	s_sub_i32 s2, s9, s7
	s_lshl_b32 s3, s7, 2
.LBB3_39:                               ; =>This Inner Loop Header: Depth=1
	v_mov_b32_e32 v1, s3
	ds_read_b32 v1, v1
	s_add_i32 s2, s2, -1
	s_add_i32 s3, s3, 4
	s_cmp_lg_u32 s2, 0
	s_waitcnt lgkmcnt(0)
	v_add_u32_e32 v2, v2, v1
	s_cbranch_scc1 .LBB3_39
.LBB3_40:
	v_mov_b32_e32 v1, 0
	s_waitcnt lgkmcnt(0)
	ds_write_b32 v1, v2
.LBB3_41:
	s_or_b64 exec, exec, s[0:1]
	s_waitcnt lgkmcnt(0)
	s_barrier
	s_branch .LBB3_25
.LBB3_42:
	s_movk_i32 s0, 0x80
	v_cmp_gt_u32_e32 vcc, s0, v0
	s_barrier
	s_and_saveexec_b64 s[0:1], vcc
	s_cbranch_execz .LBB3_44
; %bb.43:
	ds_read2st64_b32 v[4:5], v3 offset1:2
	s_waitcnt lgkmcnt(0)
	v_add_u32_e32 v1, v4, v5
	ds_write_b32 v3, v1
.LBB3_44:
	s_or_b64 exec, exec, s[0:1]
	v_cmp_gt_u32_e32 vcc, 64, v0
	s_waitcnt lgkmcnt(0)
	s_barrier
	s_and_saveexec_b64 s[0:1], vcc
	s_cbranch_execz .LBB3_46
; %bb.45:
	ds_read2st64_b32 v[4:5], v3 offset1:1
	s_waitcnt lgkmcnt(0)
	v_add_u32_e32 v1, v4, v5
	ds_write_b32 v3, v1
.LBB3_46:
	s_or_b64 exec, exec, s[0:1]
	v_cmp_gt_u32_e32 vcc, 32, v0
	s_waitcnt lgkmcnt(0)
	s_barrier
	s_and_saveexec_b64 s[0:1], vcc
	s_cbranch_execz .LBB3_48
; %bb.47:
	ds_read2_b32 v[4:5], v3 offset1:32
	s_waitcnt lgkmcnt(0)
	v_add_u32_e32 v1, v4, v5
	ds_write_b32 v3, v1
.LBB3_48:
	s_or_b64 exec, exec, s[0:1]
	v_cmp_gt_u32_e32 vcc, 16, v0
	s_waitcnt lgkmcnt(0)
	s_barrier
	s_and_saveexec_b64 s[0:1], vcc
	s_cbranch_execz .LBB3_50
; %bb.49:
	ds_read2_b32 v[4:5], v3 offset1:16
	s_waitcnt lgkmcnt(0)
	v_add_u32_e32 v1, v4, v5
	ds_write_b32 v3, v1
.LBB3_50:
	;; [unrolled: 12-line block ×5, first 2 shown]
	s_or_b64 exec, exec, s[0:1]
	v_cmp_eq_u32_e32 vcc, 0, v0
	s_waitcnt lgkmcnt(0)
	s_barrier
	s_and_saveexec_b64 s[0:1], vcc
	s_cbranch_execz .LBB3_58
; %bb.57:
	v_mov_b32_e32 v1, 0
	ds_read_b64 v[2:3], v1
	s_waitcnt lgkmcnt(0)
	v_add_u32_e32 v2, v2, v3
	ds_write_b32 v1, v2
.LBB3_58:
	s_or_b64 exec, exec, s[0:1]
	s_waitcnt lgkmcnt(0)
	s_barrier
	v_cmp_eq_u32_e32 vcc, 0, v0
	s_and_saveexec_b64 s[0:1], vcc
	s_cbranch_execz .LBB3_26
.LBB3_59:
	s_load_dwordx2 s[0:1], s[4:5], 0x20
	v_mov_b32_e32 v0, 0
	ds_read_b32 v1, v0
	s_ashr_i32 s7, s6, 31
	s_lshl_b64 s[2:3], s[6:7], 2
	s_waitcnt lgkmcnt(0)
	s_add_u32 s0, s0, s2
	s_addc_u32 s1, s1, s3
	global_store_dword v0, v1, s[0:1]
	s_endpgm
	.section	.rodata,"a",@progbits
	.p2align	6, 0x0
	.amdhsa_kernel _ZN9rocsparseL14nnz_kernel_colILi256Eii18rocsparse_bfloat16EEv16rocsparse_order_T1_S3_PKT2_lPT0_
		.amdhsa_group_segment_fixed_size 1024
		.amdhsa_private_segment_fixed_size 0
		.amdhsa_kernarg_size 40
		.amdhsa_user_sgpr_count 6
		.amdhsa_user_sgpr_private_segment_buffer 1
		.amdhsa_user_sgpr_dispatch_ptr 0
		.amdhsa_user_sgpr_queue_ptr 0
		.amdhsa_user_sgpr_kernarg_segment_ptr 1
		.amdhsa_user_sgpr_dispatch_id 0
		.amdhsa_user_sgpr_flat_scratch_init 0
		.amdhsa_user_sgpr_kernarg_preload_length 0
		.amdhsa_user_sgpr_kernarg_preload_offset 0
		.amdhsa_user_sgpr_private_segment_size 0
		.amdhsa_uses_dynamic_stack 0
		.amdhsa_system_sgpr_private_segment_wavefront_offset 0
		.amdhsa_system_sgpr_workgroup_id_x 1
		.amdhsa_system_sgpr_workgroup_id_y 0
		.amdhsa_system_sgpr_workgroup_id_z 0
		.amdhsa_system_sgpr_workgroup_info 0
		.amdhsa_system_vgpr_workitem_id 0
		.amdhsa_next_free_vgpr 38
		.amdhsa_next_free_sgpr 24
		.amdhsa_accum_offset 40
		.amdhsa_reserve_vcc 1
		.amdhsa_reserve_flat_scratch 0
		.amdhsa_float_round_mode_32 0
		.amdhsa_float_round_mode_16_64 0
		.amdhsa_float_denorm_mode_32 3
		.amdhsa_float_denorm_mode_16_64 3
		.amdhsa_dx10_clamp 1
		.amdhsa_ieee_mode 1
		.amdhsa_fp16_overflow 0
		.amdhsa_tg_split 0
		.amdhsa_exception_fp_ieee_invalid_op 0
		.amdhsa_exception_fp_denorm_src 0
		.amdhsa_exception_fp_ieee_div_zero 0
		.amdhsa_exception_fp_ieee_overflow 0
		.amdhsa_exception_fp_ieee_underflow 0
		.amdhsa_exception_fp_ieee_inexact 0
		.amdhsa_exception_int_div_zero 0
	.end_amdhsa_kernel
	.section	.text._ZN9rocsparseL14nnz_kernel_colILi256Eii18rocsparse_bfloat16EEv16rocsparse_order_T1_S3_PKT2_lPT0_,"axG",@progbits,_ZN9rocsparseL14nnz_kernel_colILi256Eii18rocsparse_bfloat16EEv16rocsparse_order_T1_S3_PKT2_lPT0_,comdat
.Lfunc_end3:
	.size	_ZN9rocsparseL14nnz_kernel_colILi256Eii18rocsparse_bfloat16EEv16rocsparse_order_T1_S3_PKT2_lPT0_, .Lfunc_end3-_ZN9rocsparseL14nnz_kernel_colILi256Eii18rocsparse_bfloat16EEv16rocsparse_order_T1_S3_PKT2_lPT0_
                                        ; -- End function
	.section	.AMDGPU.csdata,"",@progbits
; Kernel info:
; codeLenInByte = 1996
; NumSgprs: 28
; NumVgprs: 38
; NumAgprs: 0
; TotalNumVgprs: 38
; ScratchSize: 0
; MemoryBound: 0
; FloatMode: 240
; IeeeMode: 1
; LDSByteSize: 1024 bytes/workgroup (compile time only)
; SGPRBlocks: 3
; VGPRBlocks: 4
; NumSGPRsForWavesPerEU: 28
; NumVGPRsForWavesPerEU: 38
; AccumOffset: 40
; Occupancy: 8
; WaveLimiterHint : 0
; COMPUTE_PGM_RSRC2:SCRATCH_EN: 0
; COMPUTE_PGM_RSRC2:USER_SGPR: 6
; COMPUTE_PGM_RSRC2:TRAP_HANDLER: 0
; COMPUTE_PGM_RSRC2:TGID_X_EN: 1
; COMPUTE_PGM_RSRC2:TGID_Y_EN: 0
; COMPUTE_PGM_RSRC2:TGID_Z_EN: 0
; COMPUTE_PGM_RSRC2:TIDIG_COMP_CNT: 0
; COMPUTE_PGM_RSRC3_GFX90A:ACCUM_OFFSET: 9
; COMPUTE_PGM_RSRC3_GFX90A:TG_SPLIT: 0
	.section	.text._ZN9rocsparseL14nnz_kernel_rowILi64ELi16EiifEEv16rocsparse_order_T2_S2_PKT3_lPT1_,"axG",@progbits,_ZN9rocsparseL14nnz_kernel_rowILi64ELi16EiifEEv16rocsparse_order_T2_S2_PKT3_lPT1_,comdat
	.globl	_ZN9rocsparseL14nnz_kernel_rowILi64ELi16EiifEEv16rocsparse_order_T2_S2_PKT3_lPT1_ ; -- Begin function _ZN9rocsparseL14nnz_kernel_rowILi64ELi16EiifEEv16rocsparse_order_T2_S2_PKT3_lPT1_
	.p2align	8
	.type	_ZN9rocsparseL14nnz_kernel_rowILi64ELi16EiifEEv16rocsparse_order_T2_S2_PKT3_lPT1_,@function
_ZN9rocsparseL14nnz_kernel_rowILi64ELi16EiifEEv16rocsparse_order_T2_S2_PKT3_lPT1_: ; @_ZN9rocsparseL14nnz_kernel_rowILi64ELi16EiifEEv16rocsparse_order_T2_S2_PKT3_lPT1_
; %bb.0:
	s_load_dword s0, s[4:5], 0x34
	s_load_dwordx2 s[20:21], s[4:5], 0x20
	s_load_dwordx8 s[12:19], s[4:5], 0x0
	v_and_b32_e32 v1, 0x3ff, v0
	v_bfe_u32 v0, v0, 10, 10
	s_waitcnt lgkmcnt(0)
	s_and_b32 s0, s0, 0xffff
	v_mad_u32_u24 v25, v0, s0, v1
	s_ashr_i32 s0, s14, 31
	s_lshr_b32 s0, s0, 26
	s_mov_b32 s8, 0
	v_and_b32_e32 v27, 63, v25
	s_lshl_b32 s15, s6, 8
	s_add_i32 s33, s14, s0
	v_lshrrev_b32_e32 v0, 4, v25
	s_mov_b32 s9, s8
	v_or_b32_e32 v10, s15, v27
	s_andn2_b32 s33, s33, 63
	v_and_b32_e32 v8, 0x7ffffc, v0
	s_mov_b32 s10, s8
	s_mov_b32 s11, s8
	v_pk_mov_b32 v[0:1], s[8:9], s[8:9] op_sel:[0,1]
	v_cmp_gt_i32_e32 vcc, s33, v8
	v_pk_mov_b32 v[2:3], s[10:11], s[10:11] op_sel:[0,1]
	v_or_b32_e32 v28, 64, v10
	s_and_saveexec_b64 s[22:23], vcc
	s_cbranch_execz .LBB4_28
; %bb.1:
	v_or_b32_e32 v0, 0x80, v10
	v_cmp_gt_i32_e64 s[4:5], s13, v0
	v_or_b32_e32 v0, 0xc0, v10
	v_cmp_gt_i32_e64 s[6:7], s13, v0
	v_add_u32_e32 v0, s15, v27
	v_ashrrev_i32_e32 v1, 31, v0
	v_mul_lo_u32 v4, s18, v1
	v_mul_lo_u32 v5, s19, v0
	v_mad_u64_u32 v[2:3], s[26:27], s18, v0, 0
	v_add3_u32 v3, v3, v4, v5
	v_lshrrev_b32_e32 v23, 6, v25
	v_lshlrev_b64 v[2:3], 2, v[2:3]
	v_lshlrev_b32_e32 v21, 4, v23
	v_lshlrev_b32_e32 v19, 2, v23
	v_add_co_u32_e32 v12, vcc, v2, v21
	v_or_b32_e32 v5, 3, v19
	v_addc_co_u32_e32 v9, vcc, 0, v3, vcc
	v_mad_u64_u32 v[2:3], s[26:27], s18, v5, 0
	v_mov_b32_e32 v4, v3
	v_mad_u64_u32 v[4:5], s[26:27], s19, v5, v[4:5]
	v_mov_b32_e32 v3, v4
	v_lshlrev_b64 v[2:3], 2, v[2:3]
	v_lshlrev_b64 v[4:5], 2, v[0:1]
	v_add_u32_e32 v1, 64, v0
	v_add_co_u32_e32 v14, vcc, v2, v4
	v_ashrrev_i32_e32 v2, 31, v1
	v_addc_co_u32_e32 v11, vcc, v3, v5, vcc
	v_mul_lo_u32 v6, s18, v2
	v_mul_lo_u32 v7, s19, v1
	v_mad_u64_u32 v[2:3], s[28:29], s18, v1, 0
	v_add3_u32 v3, v3, v6, v7
	v_lshlrev_b64 v[2:3], 2, v[2:3]
	v_add_co_u32_e32 v16, vcc, v2, v21
	v_or_b32_e32 v1, 2, v19
	v_addc_co_u32_e32 v13, vcc, 0, v3, vcc
	v_mad_u64_u32 v[2:3], s[28:29], s18, v1, 0
	v_mov_b32_e32 v6, v3
	v_mad_u64_u32 v[6:7], s[28:29], s19, v1, v[6:7]
	v_mov_b32_e32 v3, v6
	v_lshlrev_b64 v[2:3], 2, v[2:3]
	v_add_u32_e32 v1, 0x80, v0
	v_add_co_u32_e32 v18, vcc, v2, v4
	v_ashrrev_i32_e32 v2, 31, v1
	v_addc_co_u32_e32 v15, vcc, v3, v5, vcc
	v_mul_lo_u32 v6, s18, v2
	v_mul_lo_u32 v7, s19, v1
	v_mad_u64_u32 v[2:3], s[28:29], s18, v1, 0
	v_add3_u32 v3, v3, v6, v7
	v_lshlrev_b64 v[2:3], 2, v[2:3]
	v_add_co_u32_e32 v20, vcc, v2, v21
	v_addc_co_u32_e32 v17, vcc, 0, v3, vcc
	v_pk_mov_b32 v[2:3], s[18:19], s[18:19] op_sel:[0,1]
	v_mad_u64_u32 v[2:3], s[28:29], s18, v19, v[2:3]
	v_mov_b32_e32 v6, v3
	v_mad_u64_u32 v[6:7], s[28:29], s19, v19, v[6:7]
	v_mov_b32_e32 v3, v6
	v_lshlrev_b64 v[2:3], 2, v[2:3]
	v_add_u32_e32 v0, 0xc0, v0
	v_add_co_u32_e32 v22, vcc, v2, v4
	v_ashrrev_i32_e32 v1, 31, v0
	v_addc_co_u32_e32 v19, vcc, v3, v5, vcc
	v_mul_lo_u32 v2, s18, v1
	v_mul_lo_u32 v3, s19, v0
	v_mad_u64_u32 v[0:1], s[28:29], s18, v0, 0
	v_add3_u32 v1, v1, v2, v3
	v_lshlrev_b64 v[0:1], 2, v[0:1]
	v_add_co_u32_e32 v24, vcc, v0, v21
	v_addc_co_u32_e32 v21, vcc, 0, v1, vcc
	v_mad_u64_u32 v[0:1], s[28:29], s18, v23, 0
	v_mov_b32_e32 v2, v1
	v_mad_u64_u32 v[2:3], s[28:29], s19, v23, v[2:3]
	v_mov_b32_e32 v1, v2
	v_lshlrev_b64 v[0:1], 4, v[0:1]
	v_add_co_u32_e32 v26, vcc, v0, v4
	s_cmp_lg_u32 s12, 1
	v_addc_co_u32_e32 v23, vcc, v1, v5, vcc
	v_pk_mov_b32 v[0:1], s[8:9], s[8:9] op_sel:[0,1]
	s_cselect_b64 s[24:25], -1, 0
	v_cmp_gt_i32_e64 s[0:1], s13, v10
	v_cmp_gt_i32_e64 s[2:3], s13, v28
	s_lshl_b64 s[26:27], s[18:19], 8
	s_mov_b64 s[28:29], 0
	v_pk_mov_b32 v[2:3], s[10:11], s[10:11] op_sel:[0,1]
	s_branch .LBB4_4
.LBB4_2:                                ;   in Loop: Header=BB4_4 Depth=1
	v_pk_mov_b32 v[0:1], v[4:5], v[4:5] op_sel:[0,1]
	v_pk_mov_b32 v[2:3], v[6:7], v[6:7] op_sel:[0,1]
.LBB4_3:                                ;   in Loop: Header=BB4_4 Depth=1
	s_or_b64 exec, exec, s[10:11]
	v_add_co_u32_e32 v12, vcc, 0x100, v12
	v_addc_co_u32_e32 v9, vcc, 0, v9, vcc
	v_mov_b32_e32 v4, s27
	v_add_co_u32_e32 v14, vcc, s26, v14
	v_addc_co_u32_e32 v11, vcc, v11, v4, vcc
	v_add_co_u32_e32 v16, vcc, 0x100, v16
	v_addc_co_u32_e32 v13, vcc, 0, v13, vcc
	;; [unrolled: 2-line block ×5, first 2 shown]
	v_add_co_u32_e32 v24, vcc, 0x100, v24
	v_add_u32_e32 v8, 64, v8
	v_addc_co_u32_e32 v21, vcc, 0, v21, vcc
	v_cmp_le_i32_e32 vcc, s33, v8
	s_or_b64 s[28:29], vcc, s[28:29]
	v_add_co_u32_e32 v26, vcc, s26, v26
	v_addc_co_u32_e32 v23, vcc, v23, v4, vcc
	s_andn2_b64 exec, exec, s[28:29]
	s_cbranch_execz .LBB4_27
.LBB4_4:                                ; =>This Inner Loop Header: Depth=1
	v_cndmask_b32_e64 v4, 0, 1, s[24:25]
	v_cmp_ne_u32_e64 s[8:9], 1, v4
	s_and_saveexec_b64 s[10:11], s[0:1]
	s_cbranch_execnz .LBB4_8
; %bb.5:                                ;   in Loop: Header=BB4_4 Depth=1
	s_or_b64 exec, exec, s[10:11]
	s_and_saveexec_b64 s[10:11], s[2:3]
	s_cbranch_execnz .LBB4_13
.LBB4_6:                                ;   in Loop: Header=BB4_4 Depth=1
	s_or_b64 exec, exec, s[10:11]
	s_and_saveexec_b64 s[10:11], s[4:5]
	s_cbranch_execnz .LBB4_18
.LBB4_7:                                ;   in Loop: Header=BB4_4 Depth=1
	s_or_b64 exec, exec, s[10:11]
	s_and_saveexec_b64 s[10:11], s[6:7]
	s_cbranch_execz .LBB4_3
	s_branch .LBB4_23
.LBB4_8:                                ;   in Loop: Header=BB4_4 Depth=1
	s_and_b64 vcc, exec, s[8:9]
	v_add_u32_e32 v29, 1, v0
	s_cbranch_vccnz .LBB4_10
; %bb.9:                                ;   in Loop: Header=BB4_4 Depth=1
	v_mov_b32_e32 v5, s17
	v_add_co_u32_e32 v4, vcc, s16, v12
	v_addc_co_u32_e32 v5, vcc, v5, v9, vcc
	global_load_dwordx4 v[30:33], v[4:5], off
	v_mov_b32_e32 v5, v1
	v_mov_b32_e32 v6, v2
	;; [unrolled: 1-line block ×3, first 2 shown]
	s_waitcnt vmcnt(0)
	v_cmp_neq_f32_e32 vcc, 0, v30
	v_cndmask_b32_e32 v4, v0, v29, vcc
	v_add_u32_e32 v30, 1, v4
	v_cmp_neq_f32_e32 vcc, 0, v31
	v_cndmask_b32_e32 v4, v4, v30, vcc
	v_add_u32_e32 v30, 1, v4
	;; [unrolled: 3-line block ×3, first 2 shown]
	v_cmp_neq_f32_e32 vcc, 0, v33
	v_cndmask_b32_e32 v4, v4, v30, vcc
	s_cbranch_execz .LBB4_11
	s_branch .LBB4_12
.LBB4_10:                               ;   in Loop: Header=BB4_4 Depth=1
                                        ; implicit-def: $vgpr4_vgpr5_vgpr6_vgpr7
.LBB4_11:                               ;   in Loop: Header=BB4_4 Depth=1
	v_mov_b32_e32 v30, s17
	v_add_co_u32_e32 v4, vcc, s16, v26
	v_addc_co_u32_e32 v5, vcc, v30, v23, vcc
	global_load_dword v31, v[4:5], off
	v_add_co_u32_e32 v4, vcc, s16, v22
	v_addc_co_u32_e32 v5, vcc, v30, v19, vcc
	v_add_co_u32_e32 v6, vcc, s16, v18
	v_addc_co_u32_e32 v7, vcc, v30, v15, vcc
	global_load_dword v32, v[4:5], off
	global_load_dword v33, v[6:7], off
	v_add_co_u32_e32 v4, vcc, s16, v14
	v_addc_co_u32_e32 v5, vcc, v30, v11, vcc
	global_load_dword v4, v[4:5], off
	s_waitcnt vmcnt(3)
	v_cmp_neq_f32_e32 vcc, 0, v31
	v_cndmask_b32_e32 v0, v0, v29, vcc
	v_add_u32_e32 v5, 1, v0
	s_waitcnt vmcnt(2)
	v_cmp_neq_f32_e32 vcc, 0, v32
	v_cndmask_b32_e32 v0, v0, v5, vcc
	v_add_u32_e32 v5, 1, v0
	;; [unrolled: 4-line block ×3, first 2 shown]
	s_waitcnt vmcnt(0)
	v_cmp_neq_f32_e32 vcc, 0, v4
	v_cndmask_b32_e32 v0, v0, v5, vcc
	v_pk_mov_b32 v[6:7], v[2:3], v[2:3] op_sel:[0,1]
	v_pk_mov_b32 v[4:5], v[0:1], v[0:1] op_sel:[0,1]
.LBB4_12:                               ;   in Loop: Header=BB4_4 Depth=1
	v_pk_mov_b32 v[0:1], v[4:5], v[4:5] op_sel:[0,1]
	v_pk_mov_b32 v[2:3], v[6:7], v[6:7] op_sel:[0,1]
	s_or_b64 exec, exec, s[10:11]
	s_and_saveexec_b64 s[10:11], s[2:3]
	s_cbranch_execz .LBB4_6
.LBB4_13:                               ;   in Loop: Header=BB4_4 Depth=1
	s_and_b64 vcc, exec, s[8:9]
	v_add_u32_e32 v29, 1, v1
	s_cbranch_vccnz .LBB4_15
; %bb.14:                               ;   in Loop: Header=BB4_4 Depth=1
	v_mov_b32_e32 v5, s17
	v_add_co_u32_e32 v4, vcc, s16, v16
	v_addc_co_u32_e32 v5, vcc, v5, v13, vcc
	global_load_dwordx4 v[30:33], v[4:5], off
	v_mov_b32_e32 v4, v0
	v_mov_b32_e32 v6, v2
	;; [unrolled: 1-line block ×3, first 2 shown]
	s_waitcnt vmcnt(0)
	v_cmp_neq_f32_e32 vcc, 0, v30
	v_cndmask_b32_e32 v5, v1, v29, vcc
	v_add_u32_e32 v30, 1, v5
	v_cmp_neq_f32_e32 vcc, 0, v31
	v_cndmask_b32_e32 v5, v5, v30, vcc
	v_add_u32_e32 v30, 1, v5
	;; [unrolled: 3-line block ×3, first 2 shown]
	v_cmp_neq_f32_e32 vcc, 0, v33
	v_cndmask_b32_e32 v5, v5, v30, vcc
	s_cbranch_execz .LBB4_16
	s_branch .LBB4_17
.LBB4_15:                               ;   in Loop: Header=BB4_4 Depth=1
                                        ; implicit-def: $vgpr4_vgpr5_vgpr6_vgpr7
.LBB4_16:                               ;   in Loop: Header=BB4_4 Depth=1
	v_mov_b32_e32 v30, s17
	v_add_co_u32_e32 v4, vcc, s16, v26
	v_addc_co_u32_e32 v5, vcc, v30, v23, vcc
	global_load_dword v31, v[4:5], off offset:256
	v_add_co_u32_e32 v4, vcc, s16, v22
	v_addc_co_u32_e32 v5, vcc, v30, v19, vcc
	v_add_co_u32_e32 v6, vcc, s16, v18
	v_addc_co_u32_e32 v7, vcc, v30, v15, vcc
	global_load_dword v32, v[4:5], off offset:256
	global_load_dword v33, v[6:7], off offset:256
	v_add_co_u32_e32 v4, vcc, s16, v14
	v_addc_co_u32_e32 v5, vcc, v30, v11, vcc
	global_load_dword v4, v[4:5], off offset:256
	s_waitcnt vmcnt(3)
	v_cmp_neq_f32_e32 vcc, 0, v31
	v_cndmask_b32_e32 v1, v1, v29, vcc
	v_add_u32_e32 v5, 1, v1
	s_waitcnt vmcnt(2)
	v_cmp_neq_f32_e32 vcc, 0, v32
	v_cndmask_b32_e32 v1, v1, v5, vcc
	v_add_u32_e32 v5, 1, v1
	;; [unrolled: 4-line block ×3, first 2 shown]
	s_waitcnt vmcnt(0)
	v_cmp_neq_f32_e32 vcc, 0, v4
	v_cndmask_b32_e32 v1, v1, v5, vcc
	v_pk_mov_b32 v[6:7], v[2:3], v[2:3] op_sel:[0,1]
	v_pk_mov_b32 v[4:5], v[0:1], v[0:1] op_sel:[0,1]
.LBB4_17:                               ;   in Loop: Header=BB4_4 Depth=1
	v_pk_mov_b32 v[0:1], v[4:5], v[4:5] op_sel:[0,1]
	v_pk_mov_b32 v[2:3], v[6:7], v[6:7] op_sel:[0,1]
	s_or_b64 exec, exec, s[10:11]
	s_and_saveexec_b64 s[10:11], s[4:5]
	s_cbranch_execz .LBB4_7
.LBB4_18:                               ;   in Loop: Header=BB4_4 Depth=1
	s_and_b64 vcc, exec, s[8:9]
	v_add_u32_e32 v29, 1, v2
	s_cbranch_vccnz .LBB4_20
; %bb.19:                               ;   in Loop: Header=BB4_4 Depth=1
	v_mov_b32_e32 v5, s17
	v_add_co_u32_e32 v4, vcc, s16, v20
	v_addc_co_u32_e32 v5, vcc, v5, v17, vcc
	global_load_dwordx4 v[30:33], v[4:5], off
	v_mov_b32_e32 v4, v0
	v_mov_b32_e32 v5, v1
	;; [unrolled: 1-line block ×3, first 2 shown]
	s_waitcnt vmcnt(0)
	v_cmp_neq_f32_e32 vcc, 0, v30
	v_cndmask_b32_e32 v6, v2, v29, vcc
	v_add_u32_e32 v30, 1, v6
	v_cmp_neq_f32_e32 vcc, 0, v31
	v_cndmask_b32_e32 v6, v6, v30, vcc
	v_add_u32_e32 v30, 1, v6
	;; [unrolled: 3-line block ×3, first 2 shown]
	v_cmp_neq_f32_e32 vcc, 0, v33
	v_cndmask_b32_e32 v6, v6, v30, vcc
	s_cbranch_execz .LBB4_21
	s_branch .LBB4_22
.LBB4_20:                               ;   in Loop: Header=BB4_4 Depth=1
                                        ; implicit-def: $vgpr4_vgpr5_vgpr6_vgpr7
.LBB4_21:                               ;   in Loop: Header=BB4_4 Depth=1
	v_mov_b32_e32 v30, s17
	v_add_co_u32_e32 v4, vcc, s16, v26
	v_addc_co_u32_e32 v5, vcc, v30, v23, vcc
	global_load_dword v31, v[4:5], off offset:512
	v_add_co_u32_e32 v4, vcc, s16, v22
	v_addc_co_u32_e32 v5, vcc, v30, v19, vcc
	v_add_co_u32_e32 v6, vcc, s16, v18
	v_addc_co_u32_e32 v7, vcc, v30, v15, vcc
	global_load_dword v32, v[4:5], off offset:512
	global_load_dword v33, v[6:7], off offset:512
	v_add_co_u32_e32 v4, vcc, s16, v14
	v_addc_co_u32_e32 v5, vcc, v30, v11, vcc
	global_load_dword v4, v[4:5], off offset:512
	s_waitcnt vmcnt(3)
	v_cmp_neq_f32_e32 vcc, 0, v31
	v_cndmask_b32_e32 v2, v2, v29, vcc
	v_add_u32_e32 v5, 1, v2
	s_waitcnt vmcnt(2)
	v_cmp_neq_f32_e32 vcc, 0, v32
	v_cndmask_b32_e32 v2, v2, v5, vcc
	v_add_u32_e32 v5, 1, v2
	s_waitcnt vmcnt(1)
	v_cmp_neq_f32_e32 vcc, 0, v33
	v_cndmask_b32_e32 v2, v2, v5, vcc
	v_add_u32_e32 v5, 1, v2
	s_waitcnt vmcnt(0)
	v_cmp_neq_f32_e32 vcc, 0, v4
	v_cndmask_b32_e32 v2, v2, v5, vcc
	v_pk_mov_b32 v[6:7], v[2:3], v[2:3] op_sel:[0,1]
	v_pk_mov_b32 v[4:5], v[0:1], v[0:1] op_sel:[0,1]
.LBB4_22:                               ;   in Loop: Header=BB4_4 Depth=1
	v_pk_mov_b32 v[0:1], v[4:5], v[4:5] op_sel:[0,1]
	v_pk_mov_b32 v[2:3], v[6:7], v[6:7] op_sel:[0,1]
	s_or_b64 exec, exec, s[10:11]
	s_and_saveexec_b64 s[10:11], s[6:7]
	s_cbranch_execz .LBB4_3
.LBB4_23:                               ;   in Loop: Header=BB4_4 Depth=1
	s_and_b64 vcc, exec, s[8:9]
	v_add_u32_e32 v29, 1, v3
	s_cbranch_vccnz .LBB4_25
; %bb.24:                               ;   in Loop: Header=BB4_4 Depth=1
	v_mov_b32_e32 v5, s17
	v_add_co_u32_e32 v4, vcc, s16, v24
	v_addc_co_u32_e32 v5, vcc, v5, v21, vcc
	global_load_dwordx4 v[30:33], v[4:5], off
	v_mov_b32_e32 v4, v0
	v_mov_b32_e32 v5, v1
	;; [unrolled: 1-line block ×3, first 2 shown]
	s_waitcnt vmcnt(0)
	v_cmp_neq_f32_e32 vcc, 0, v30
	v_cndmask_b32_e32 v7, v3, v29, vcc
	v_add_u32_e32 v30, 1, v7
	v_cmp_neq_f32_e32 vcc, 0, v31
	v_cndmask_b32_e32 v7, v7, v30, vcc
	v_add_u32_e32 v30, 1, v7
	;; [unrolled: 3-line block ×3, first 2 shown]
	v_cmp_neq_f32_e32 vcc, 0, v33
	v_cndmask_b32_e32 v7, v7, v30, vcc
	s_cbranch_execnz .LBB4_2
	s_branch .LBB4_26
.LBB4_25:                               ;   in Loop: Header=BB4_4 Depth=1
                                        ; implicit-def: $vgpr4_vgpr5_vgpr6_vgpr7
.LBB4_26:                               ;   in Loop: Header=BB4_4 Depth=1
	v_mov_b32_e32 v30, s17
	v_add_co_u32_e32 v4, vcc, s16, v26
	v_addc_co_u32_e32 v5, vcc, v30, v23, vcc
	global_load_dword v31, v[4:5], off offset:768
	v_add_co_u32_e32 v4, vcc, s16, v22
	v_addc_co_u32_e32 v5, vcc, v30, v19, vcc
	v_add_co_u32_e32 v6, vcc, s16, v18
	v_addc_co_u32_e32 v7, vcc, v30, v15, vcc
	global_load_dword v32, v[4:5], off offset:768
	global_load_dword v33, v[6:7], off offset:768
	v_add_co_u32_e32 v4, vcc, s16, v14
	v_addc_co_u32_e32 v5, vcc, v30, v11, vcc
	global_load_dword v4, v[4:5], off offset:768
	s_waitcnt vmcnt(3)
	v_cmp_neq_f32_e32 vcc, 0, v31
	v_cndmask_b32_e32 v3, v3, v29, vcc
	v_add_u32_e32 v5, 1, v3
	s_waitcnt vmcnt(2)
	v_cmp_neq_f32_e32 vcc, 0, v32
	v_cndmask_b32_e32 v3, v3, v5, vcc
	v_add_u32_e32 v5, 1, v3
	;; [unrolled: 4-line block ×3, first 2 shown]
	s_waitcnt vmcnt(0)
	v_cmp_neq_f32_e32 vcc, 0, v4
	v_cndmask_b32_e32 v3, v3, v5, vcc
	v_pk_mov_b32 v[6:7], v[2:3], v[2:3] op_sel:[0,1]
	v_pk_mov_b32 v[4:5], v[0:1], v[0:1] op_sel:[0,1]
	s_branch .LBB4_2
.LBB4_27:
	s_or_b64 exec, exec, s[28:29]
.LBB4_28:
	s_or_b64 exec, exec, s[22:23]
	s_sub_i32 s0, s14, s33
	s_cmp_lt_i32 s0, 1
	s_cbranch_scc1 .LBB4_126
; %bb.29:
	v_mov_b32_e32 v9, 0
	v_lshlrev_b64 v[4:5], 2, v[8:9]
	s_cmp_eq_u32 s12, 1
	v_mov_b32_e32 v6, s17
	v_add_co_u32_e32 v9, vcc, s16, v4
	s_cselect_b64 s[2:3], -1, 0
	s_cmp_lg_u32 s12, 1
	v_addc_co_u32_e32 v12, vcc, v6, v5, vcc
	s_cselect_b64 s[0:1], -1, 0
	v_cmp_gt_i32_e32 vcc, s13, v10
	v_ashrrev_i32_e32 v11, 31, v10
	s_and_saveexec_b64 s[4:5], vcc
	s_cbranch_execz .LBB4_53
; %bb.30:
	v_mul_lo_u32 v6, v10, s19
	v_mul_lo_u32 v7, v11, s18
	v_mad_u64_u32 v[4:5], s[6:7], v10, s18, 0
	v_add3_u32 v5, v5, v6, v7
	v_lshlrev_b64 v[4:5], 2, v[4:5]
	v_add_co_u32_e32 v4, vcc, v9, v4
	v_addc_co_u32_e32 v5, vcc, v12, v5, vcc
	v_lshlrev_b64 v[6:7], 2, v[10:11]
	v_mov_b32_e32 v14, s17
	v_add_co_u32_e32 v13, vcc, s16, v6
	v_addc_co_u32_e32 v14, vcc, v14, v7, vcc
	v_cmp_gt_i32_e32 vcc, s14, v8
	s_and_saveexec_b64 s[6:7], vcc
	s_cbranch_execz .LBB4_34
; %bb.31:
	s_andn2_b64 vcc, exec, s[2:3]
	v_pk_mov_b32 v[6:7], v[4:5], v[4:5] op_sel:[0,1]
	s_cbranch_vccnz .LBB4_33
; %bb.32:
	v_mad_u64_u32 v[6:7], s[8:9], v8, s18, 0
	v_mov_b32_e32 v16, v7
	v_mad_u64_u32 v[16:17], s[8:9], v8, s19, v[16:17]
	v_mov_b32_e32 v7, v16
	v_lshlrev_b64 v[6:7], 2, v[6:7]
	v_add_co_u32_e32 v6, vcc, v13, v6
	v_addc_co_u32_e32 v7, vcc, v14, v7, vcc
.LBB4_33:
	global_load_dword v6, v[6:7], off
	s_waitcnt vmcnt(0)
	v_cmp_neq_f32_e32 vcc, 0, v6
	v_addc_co_u32_e32 v0, vcc, 0, v0, vcc
.LBB4_34:
	s_or_b64 exec, exec, s[6:7]
	v_or_b32_e32 v15, 1, v8
	v_cmp_gt_i32_e32 vcc, s14, v15
	s_and_saveexec_b64 s[6:7], vcc
	s_cbranch_execz .LBB4_40
; %bb.35:
	s_andn2_b64 vcc, exec, s[0:1]
	s_cbranch_vccnz .LBB4_37
; %bb.36:
	v_add_co_u32_e32 v6, vcc, 4, v4
	v_addc_co_u32_e32 v7, vcc, 0, v5, vcc
	s_cbranch_execz .LBB4_38
	s_branch .LBB4_39
.LBB4_37:
                                        ; implicit-def: $vgpr6_vgpr7
.LBB4_38:
	v_mad_u64_u32 v[6:7], s[8:9], v15, s18, 0
	v_mov_b32_e32 v16, v7
	v_mad_u64_u32 v[16:17], s[8:9], v15, s19, v[16:17]
	v_mov_b32_e32 v7, v16
	v_lshlrev_b64 v[6:7], 2, v[6:7]
	v_add_co_u32_e32 v6, vcc, v13, v6
	v_addc_co_u32_e32 v7, vcc, v14, v7, vcc
.LBB4_39:
	global_load_dword v6, v[6:7], off
	s_waitcnt vmcnt(0)
	v_cmp_neq_f32_e32 vcc, 0, v6
	v_addc_co_u32_e32 v0, vcc, 0, v0, vcc
.LBB4_40:
	s_or_b64 exec, exec, s[6:7]
	v_or_b32_e32 v15, 2, v8
	v_cmp_gt_i32_e32 vcc, s14, v15
	s_and_saveexec_b64 s[6:7], vcc
	s_cbranch_execz .LBB4_46
; %bb.41:
	s_andn2_b64 vcc, exec, s[0:1]
	s_cbranch_vccnz .LBB4_43
; %bb.42:
	v_add_co_u32_e32 v6, vcc, 8, v4
	v_addc_co_u32_e32 v7, vcc, 0, v5, vcc
	s_cbranch_execz .LBB4_44
	s_branch .LBB4_45
.LBB4_43:
                                        ; implicit-def: $vgpr6_vgpr7
.LBB4_44:
	v_mad_u64_u32 v[6:7], s[8:9], v15, s18, 0
	v_mov_b32_e32 v16, v7
	v_mad_u64_u32 v[16:17], s[8:9], v15, s19, v[16:17]
	v_mov_b32_e32 v7, v16
	v_lshlrev_b64 v[6:7], 2, v[6:7]
	v_add_co_u32_e32 v6, vcc, v13, v6
	v_addc_co_u32_e32 v7, vcc, v14, v7, vcc
.LBB4_45:
	global_load_dword v6, v[6:7], off
	s_waitcnt vmcnt(0)
	v_cmp_neq_f32_e32 vcc, 0, v6
	v_addc_co_u32_e32 v0, vcc, 0, v0, vcc
.LBB4_46:
	s_or_b64 exec, exec, s[6:7]
	v_or_b32_e32 v6, 3, v8
	v_cmp_gt_i32_e32 vcc, s14, v6
	s_and_saveexec_b64 s[6:7], vcc
	s_cbranch_execz .LBB4_52
; %bb.47:
	s_andn2_b64 vcc, exec, s[0:1]
	s_cbranch_vccnz .LBB4_49
; %bb.48:
	v_add_co_u32_e32 v4, vcc, 12, v4
	v_addc_co_u32_e32 v5, vcc, 0, v5, vcc
	s_cbranch_execz .LBB4_50
	s_branch .LBB4_51
.LBB4_49:
                                        ; implicit-def: $vgpr4_vgpr5
.LBB4_50:
	v_mad_u64_u32 v[4:5], s[8:9], v6, s18, 0
	v_mov_b32_e32 v16, v5
	v_mad_u64_u32 v[6:7], s[8:9], v6, s19, v[16:17]
	v_mov_b32_e32 v5, v6
	v_lshlrev_b64 v[4:5], 2, v[4:5]
	v_add_co_u32_e32 v4, vcc, v13, v4
	v_addc_co_u32_e32 v5, vcc, v14, v5, vcc
.LBB4_51:
	global_load_dword v4, v[4:5], off
	s_waitcnt vmcnt(0)
	v_cmp_neq_f32_e32 vcc, 0, v4
	v_addc_co_u32_e32 v0, vcc, 0, v0, vcc
.LBB4_52:
	s_or_b64 exec, exec, s[6:7]
.LBB4_53:
	s_or_b64 exec, exec, s[4:5]
	v_cmp_gt_i32_e32 vcc, s13, v28
	s_and_saveexec_b64 s[4:5], vcc
	s_cbranch_execz .LBB4_77
; %bb.54:
	v_ashrrev_i32_e32 v4, 31, v28
	v_mul_lo_u32 v6, v28, s19
	v_mul_lo_u32 v7, v4, s18
	v_mad_u64_u32 v[4:5], s[6:7], v28, s18, 0
	v_add3_u32 v5, v5, v6, v7
	v_lshlrev_b64 v[4:5], 2, v[4:5]
	v_add_co_u32_e32 v4, vcc, v9, v4
	v_addc_co_u32_e32 v5, vcc, v12, v5, vcc
	v_lshlrev_b64 v[6:7], 2, v[10:11]
	v_mov_b32_e32 v14, s17
	v_add_co_u32_e32 v13, vcc, s16, v6
	v_addc_co_u32_e32 v14, vcc, v14, v7, vcc
	v_cmp_gt_i32_e32 vcc, s14, v8
	s_and_saveexec_b64 s[6:7], vcc
	s_cbranch_execz .LBB4_58
; %bb.55:
	s_andn2_b64 vcc, exec, s[2:3]
	v_pk_mov_b32 v[6:7], v[4:5], v[4:5] op_sel:[0,1]
	s_cbranch_vccnz .LBB4_57
; %bb.56:
	v_mad_u64_u32 v[6:7], s[8:9], v8, s18, 0
	v_mov_b32_e32 v16, v7
	v_mad_u64_u32 v[16:17], s[8:9], v8, s19, v[16:17]
	v_mov_b32_e32 v7, v16
	v_lshlrev_b64 v[6:7], 2, v[6:7]
	v_add_co_u32_e32 v6, vcc, v13, v6
	v_addc_co_u32_e32 v7, vcc, v14, v7, vcc
	v_add_co_u32_e32 v6, vcc, 0x100, v6
	v_addc_co_u32_e32 v7, vcc, 0, v7, vcc
.LBB4_57:
	global_load_dword v6, v[6:7], off
	s_waitcnt vmcnt(0)
	v_cmp_neq_f32_e32 vcc, 0, v6
	v_addc_co_u32_e32 v1, vcc, 0, v1, vcc
.LBB4_58:
	s_or_b64 exec, exec, s[6:7]
	v_or_b32_e32 v15, 1, v8
	v_cmp_gt_i32_e32 vcc, s14, v15
	s_and_saveexec_b64 s[6:7], vcc
	s_cbranch_execz .LBB4_64
; %bb.59:
	s_andn2_b64 vcc, exec, s[0:1]
	s_cbranch_vccnz .LBB4_61
; %bb.60:
	v_add_co_u32_e32 v6, vcc, 4, v4
	v_addc_co_u32_e32 v7, vcc, 0, v5, vcc
	s_cbranch_execz .LBB4_62
	s_branch .LBB4_63
.LBB4_61:
                                        ; implicit-def: $vgpr6_vgpr7
.LBB4_62:
	v_mad_u64_u32 v[6:7], s[8:9], v15, s18, 0
	v_mov_b32_e32 v16, v7
	v_mad_u64_u32 v[16:17], s[8:9], v15, s19, v[16:17]
	v_mov_b32_e32 v7, v16
	v_lshlrev_b64 v[6:7], 2, v[6:7]
	v_add_co_u32_e32 v6, vcc, v13, v6
	v_addc_co_u32_e32 v7, vcc, v14, v7, vcc
	v_add_co_u32_e32 v6, vcc, 0x100, v6
	v_addc_co_u32_e32 v7, vcc, 0, v7, vcc
.LBB4_63:
	global_load_dword v6, v[6:7], off
	s_waitcnt vmcnt(0)
	v_cmp_neq_f32_e32 vcc, 0, v6
	v_addc_co_u32_e32 v1, vcc, 0, v1, vcc
.LBB4_64:
	s_or_b64 exec, exec, s[6:7]
	v_or_b32_e32 v15, 2, v8
	v_cmp_gt_i32_e32 vcc, s14, v15
	s_and_saveexec_b64 s[6:7], vcc
	s_cbranch_execz .LBB4_70
; %bb.65:
	s_andn2_b64 vcc, exec, s[0:1]
	s_cbranch_vccnz .LBB4_67
; %bb.66:
	v_add_co_u32_e32 v6, vcc, 8, v4
	v_addc_co_u32_e32 v7, vcc, 0, v5, vcc
	s_cbranch_execz .LBB4_68
	s_branch .LBB4_69
.LBB4_67:
                                        ; implicit-def: $vgpr6_vgpr7
.LBB4_68:
	v_mad_u64_u32 v[6:7], s[8:9], v15, s18, 0
	v_mov_b32_e32 v16, v7
	v_mad_u64_u32 v[16:17], s[8:9], v15, s19, v[16:17]
	v_mov_b32_e32 v7, v16
	v_lshlrev_b64 v[6:7], 2, v[6:7]
	v_add_co_u32_e32 v6, vcc, v13, v6
	v_addc_co_u32_e32 v7, vcc, v14, v7, vcc
	v_add_co_u32_e32 v6, vcc, 0x100, v6
	v_addc_co_u32_e32 v7, vcc, 0, v7, vcc
.LBB4_69:
	global_load_dword v6, v[6:7], off
	s_waitcnt vmcnt(0)
	v_cmp_neq_f32_e32 vcc, 0, v6
	v_addc_co_u32_e32 v1, vcc, 0, v1, vcc
.LBB4_70:
	s_or_b64 exec, exec, s[6:7]
	v_or_b32_e32 v6, 3, v8
	v_cmp_gt_i32_e32 vcc, s14, v6
	s_and_saveexec_b64 s[6:7], vcc
	s_cbranch_execz .LBB4_76
; %bb.71:
	s_andn2_b64 vcc, exec, s[0:1]
	s_cbranch_vccnz .LBB4_73
; %bb.72:
	v_add_co_u32_e32 v4, vcc, 12, v4
	v_addc_co_u32_e32 v5, vcc, 0, v5, vcc
	s_cbranch_execz .LBB4_74
	s_branch .LBB4_75
.LBB4_73:
                                        ; implicit-def: $vgpr4_vgpr5
.LBB4_74:
	v_mad_u64_u32 v[4:5], s[8:9], v6, s18, 0
	v_mov_b32_e32 v16, v5
	v_mad_u64_u32 v[6:7], s[8:9], v6, s19, v[16:17]
	v_mov_b32_e32 v5, v6
	v_lshlrev_b64 v[4:5], 2, v[4:5]
	v_add_co_u32_e32 v4, vcc, v13, v4
	v_addc_co_u32_e32 v5, vcc, v14, v5, vcc
	v_add_co_u32_e32 v4, vcc, 0x100, v4
	v_addc_co_u32_e32 v5, vcc, 0, v5, vcc
.LBB4_75:
	global_load_dword v4, v[4:5], off
	s_waitcnt vmcnt(0)
	v_cmp_neq_f32_e32 vcc, 0, v4
	v_addc_co_u32_e32 v1, vcc, 0, v1, vcc
.LBB4_76:
	s_or_b64 exec, exec, s[6:7]
.LBB4_77:
	s_or_b64 exec, exec, s[4:5]
	v_or_b32_e32 v4, 0x80, v10
	v_cmp_gt_i32_e32 vcc, s13, v4
	s_and_saveexec_b64 s[4:5], vcc
	s_cbranch_execz .LBB4_101
; %bb.78:
	v_ashrrev_i32_e32 v5, 31, v4
	v_mul_lo_u32 v6, v4, s19
	v_mul_lo_u32 v7, v5, s18
	v_mad_u64_u32 v[4:5], s[6:7], v4, s18, 0
	v_add3_u32 v5, v5, v6, v7
	v_lshlrev_b64 v[4:5], 2, v[4:5]
	v_add_co_u32_e32 v4, vcc, v9, v4
	v_addc_co_u32_e32 v5, vcc, v12, v5, vcc
	v_lshlrev_b64 v[6:7], 2, v[10:11]
	v_mov_b32_e32 v14, s17
	v_add_co_u32_e32 v13, vcc, s16, v6
	v_addc_co_u32_e32 v14, vcc, v14, v7, vcc
	v_cmp_gt_i32_e32 vcc, s14, v8
	s_and_saveexec_b64 s[6:7], vcc
	s_cbranch_execz .LBB4_82
; %bb.79:
	s_andn2_b64 vcc, exec, s[2:3]
	v_pk_mov_b32 v[6:7], v[4:5], v[4:5] op_sel:[0,1]
	s_cbranch_vccnz .LBB4_81
; %bb.80:
	v_mad_u64_u32 v[6:7], s[8:9], v8, s18, 0
	v_mov_b32_e32 v16, v7
	v_mad_u64_u32 v[16:17], s[8:9], v8, s19, v[16:17]
	v_mov_b32_e32 v7, v16
	v_lshlrev_b64 v[6:7], 2, v[6:7]
	v_add_co_u32_e32 v6, vcc, v13, v6
	v_addc_co_u32_e32 v7, vcc, v14, v7, vcc
	v_add_co_u32_e32 v6, vcc, 0x200, v6
	v_addc_co_u32_e32 v7, vcc, 0, v7, vcc
.LBB4_81:
	global_load_dword v6, v[6:7], off
	s_waitcnt vmcnt(0)
	v_cmp_neq_f32_e32 vcc, 0, v6
	v_addc_co_u32_e32 v2, vcc, 0, v2, vcc
.LBB4_82:
	s_or_b64 exec, exec, s[6:7]
	v_or_b32_e32 v15, 1, v8
	v_cmp_gt_i32_e32 vcc, s14, v15
	s_and_saveexec_b64 s[6:7], vcc
	s_cbranch_execz .LBB4_88
; %bb.83:
	s_andn2_b64 vcc, exec, s[0:1]
	s_cbranch_vccnz .LBB4_85
; %bb.84:
	v_add_co_u32_e32 v6, vcc, 4, v4
	v_addc_co_u32_e32 v7, vcc, 0, v5, vcc
	s_cbranch_execz .LBB4_86
	s_branch .LBB4_87
.LBB4_85:
                                        ; implicit-def: $vgpr6_vgpr7
.LBB4_86:
	v_mad_u64_u32 v[6:7], s[8:9], v15, s18, 0
	v_mov_b32_e32 v16, v7
	v_mad_u64_u32 v[16:17], s[8:9], v15, s19, v[16:17]
	v_mov_b32_e32 v7, v16
	v_lshlrev_b64 v[6:7], 2, v[6:7]
	v_add_co_u32_e32 v6, vcc, v13, v6
	v_addc_co_u32_e32 v7, vcc, v14, v7, vcc
	v_add_co_u32_e32 v6, vcc, 0x200, v6
	v_addc_co_u32_e32 v7, vcc, 0, v7, vcc
.LBB4_87:
	global_load_dword v6, v[6:7], off
	s_waitcnt vmcnt(0)
	v_cmp_neq_f32_e32 vcc, 0, v6
	v_addc_co_u32_e32 v2, vcc, 0, v2, vcc
.LBB4_88:
	s_or_b64 exec, exec, s[6:7]
	v_or_b32_e32 v15, 2, v8
	v_cmp_gt_i32_e32 vcc, s14, v15
	s_and_saveexec_b64 s[6:7], vcc
	s_cbranch_execz .LBB4_94
; %bb.89:
	s_andn2_b64 vcc, exec, s[0:1]
	s_cbranch_vccnz .LBB4_91
; %bb.90:
	v_add_co_u32_e32 v6, vcc, 8, v4
	v_addc_co_u32_e32 v7, vcc, 0, v5, vcc
	s_cbranch_execz .LBB4_92
	s_branch .LBB4_93
.LBB4_91:
                                        ; implicit-def: $vgpr6_vgpr7
.LBB4_92:
	v_mad_u64_u32 v[6:7], s[8:9], v15, s18, 0
	v_mov_b32_e32 v16, v7
	v_mad_u64_u32 v[16:17], s[8:9], v15, s19, v[16:17]
	v_mov_b32_e32 v7, v16
	v_lshlrev_b64 v[6:7], 2, v[6:7]
	v_add_co_u32_e32 v6, vcc, v13, v6
	v_addc_co_u32_e32 v7, vcc, v14, v7, vcc
	v_add_co_u32_e32 v6, vcc, 0x200, v6
	v_addc_co_u32_e32 v7, vcc, 0, v7, vcc
.LBB4_93:
	global_load_dword v6, v[6:7], off
	s_waitcnt vmcnt(0)
	v_cmp_neq_f32_e32 vcc, 0, v6
	v_addc_co_u32_e32 v2, vcc, 0, v2, vcc
.LBB4_94:
	s_or_b64 exec, exec, s[6:7]
	v_or_b32_e32 v6, 3, v8
	v_cmp_gt_i32_e32 vcc, s14, v6
	s_and_saveexec_b64 s[6:7], vcc
	s_cbranch_execz .LBB4_100
; %bb.95:
	s_andn2_b64 vcc, exec, s[0:1]
	s_cbranch_vccnz .LBB4_97
; %bb.96:
	v_add_co_u32_e32 v4, vcc, 12, v4
	v_addc_co_u32_e32 v5, vcc, 0, v5, vcc
	s_cbranch_execz .LBB4_98
	s_branch .LBB4_99
.LBB4_97:
                                        ; implicit-def: $vgpr4_vgpr5
.LBB4_98:
	v_mad_u64_u32 v[4:5], s[8:9], v6, s18, 0
	v_mov_b32_e32 v16, v5
	v_mad_u64_u32 v[6:7], s[8:9], v6, s19, v[16:17]
	v_mov_b32_e32 v5, v6
	v_lshlrev_b64 v[4:5], 2, v[4:5]
	v_add_co_u32_e32 v4, vcc, v13, v4
	v_addc_co_u32_e32 v5, vcc, v14, v5, vcc
	v_add_co_u32_e32 v4, vcc, 0x200, v4
	v_addc_co_u32_e32 v5, vcc, 0, v5, vcc
.LBB4_99:
	global_load_dword v4, v[4:5], off
	s_waitcnt vmcnt(0)
	v_cmp_neq_f32_e32 vcc, 0, v4
	v_addc_co_u32_e32 v2, vcc, 0, v2, vcc
.LBB4_100:
	s_or_b64 exec, exec, s[6:7]
.LBB4_101:
	s_or_b64 exec, exec, s[4:5]
	v_or_b32_e32 v4, 0xc0, v10
	v_cmp_gt_i32_e32 vcc, s13, v4
	s_and_saveexec_b64 s[4:5], vcc
	s_cbranch_execz .LBB4_125
; %bb.102:
	v_ashrrev_i32_e32 v5, 31, v4
	v_mul_lo_u32 v6, v4, s19
	v_mul_lo_u32 v7, v5, s18
	v_mad_u64_u32 v[4:5], s[6:7], v4, s18, 0
	v_add3_u32 v5, v5, v6, v7
	v_lshlrev_b64 v[4:5], 2, v[4:5]
	v_add_co_u32_e32 v4, vcc, v9, v4
	v_addc_co_u32_e32 v5, vcc, v12, v5, vcc
	v_lshlrev_b64 v[6:7], 2, v[10:11]
	v_mov_b32_e32 v10, s17
	v_add_co_u32_e32 v9, vcc, s16, v6
	v_addc_co_u32_e32 v10, vcc, v10, v7, vcc
	v_cmp_gt_i32_e32 vcc, s14, v8
	s_and_saveexec_b64 s[6:7], vcc
	s_cbranch_execz .LBB4_106
; %bb.103:
	s_andn2_b64 vcc, exec, s[2:3]
	v_pk_mov_b32 v[6:7], v[4:5], v[4:5] op_sel:[0,1]
	s_cbranch_vccnz .LBB4_105
; %bb.104:
	v_mad_u64_u32 v[6:7], s[2:3], v8, s18, 0
	v_mov_b32_e32 v12, v7
	v_mad_u64_u32 v[12:13], s[2:3], v8, s19, v[12:13]
	v_mov_b32_e32 v7, v12
	v_lshlrev_b64 v[6:7], 2, v[6:7]
	v_add_co_u32_e32 v6, vcc, v9, v6
	v_addc_co_u32_e32 v7, vcc, v10, v7, vcc
	v_add_co_u32_e32 v6, vcc, 0x300, v6
	v_addc_co_u32_e32 v7, vcc, 0, v7, vcc
.LBB4_105:
	global_load_dword v6, v[6:7], off
	s_waitcnt vmcnt(0)
	v_cmp_neq_f32_e32 vcc, 0, v6
	v_addc_co_u32_e32 v3, vcc, 0, v3, vcc
.LBB4_106:
	s_or_b64 exec, exec, s[6:7]
	v_or_b32_e32 v11, 1, v8
	v_cndmask_b32_e64 v6, 0, 1, s[0:1]
	v_cmp_gt_i32_e32 vcc, s14, v11
	v_cmp_ne_u32_e64 s[0:1], 1, v6
	s_and_saveexec_b64 s[2:3], vcc
	s_cbranch_execz .LBB4_112
; %bb.107:
	s_and_b64 vcc, exec, s[0:1]
	s_cbranch_vccnz .LBB4_109
; %bb.108:
	v_add_co_u32_e32 v6, vcc, 4, v4
	v_addc_co_u32_e32 v7, vcc, 0, v5, vcc
	s_cbranch_execz .LBB4_110
	s_branch .LBB4_111
.LBB4_109:
                                        ; implicit-def: $vgpr6_vgpr7
.LBB4_110:
	v_mad_u64_u32 v[6:7], s[6:7], v11, s18, 0
	v_mov_b32_e32 v12, v7
	v_mad_u64_u32 v[12:13], s[6:7], v11, s19, v[12:13]
	v_mov_b32_e32 v7, v12
	v_lshlrev_b64 v[6:7], 2, v[6:7]
	v_add_co_u32_e32 v6, vcc, v9, v6
	v_addc_co_u32_e32 v7, vcc, v10, v7, vcc
	v_add_co_u32_e32 v6, vcc, 0x300, v6
	v_addc_co_u32_e32 v7, vcc, 0, v7, vcc
.LBB4_111:
	global_load_dword v6, v[6:7], off
	s_waitcnt vmcnt(0)
	v_cmp_neq_f32_e32 vcc, 0, v6
	v_addc_co_u32_e32 v3, vcc, 0, v3, vcc
.LBB4_112:
	s_or_b64 exec, exec, s[2:3]
	v_or_b32_e32 v11, 2, v8
	v_cmp_gt_i32_e32 vcc, s14, v11
	s_and_saveexec_b64 s[2:3], vcc
	s_cbranch_execz .LBB4_118
; %bb.113:
	s_and_b64 vcc, exec, s[0:1]
	s_cbranch_vccnz .LBB4_115
; %bb.114:
	v_add_co_u32_e32 v6, vcc, 8, v4
	v_addc_co_u32_e32 v7, vcc, 0, v5, vcc
	s_cbranch_execz .LBB4_116
	s_branch .LBB4_117
.LBB4_115:
                                        ; implicit-def: $vgpr6_vgpr7
.LBB4_116:
	v_mad_u64_u32 v[6:7], s[6:7], v11, s18, 0
	v_mov_b32_e32 v12, v7
	v_mad_u64_u32 v[12:13], s[6:7], v11, s19, v[12:13]
	v_mov_b32_e32 v7, v12
	v_lshlrev_b64 v[6:7], 2, v[6:7]
	v_add_co_u32_e32 v6, vcc, v9, v6
	v_addc_co_u32_e32 v7, vcc, v10, v7, vcc
	v_add_co_u32_e32 v6, vcc, 0x300, v6
	v_addc_co_u32_e32 v7, vcc, 0, v7, vcc
.LBB4_117:
	global_load_dword v6, v[6:7], off
	s_waitcnt vmcnt(0)
	v_cmp_neq_f32_e32 vcc, 0, v6
	v_addc_co_u32_e32 v3, vcc, 0, v3, vcc
.LBB4_118:
	s_or_b64 exec, exec, s[2:3]
	v_or_b32_e32 v6, 3, v8
	v_cmp_gt_i32_e32 vcc, s14, v6
	s_and_saveexec_b64 s[2:3], vcc
	s_cbranch_execz .LBB4_124
; %bb.119:
	s_and_b64 vcc, exec, s[0:1]
	s_cbranch_vccnz .LBB4_121
; %bb.120:
	v_add_co_u32_e32 v4, vcc, 12, v4
	v_addc_co_u32_e32 v5, vcc, 0, v5, vcc
	s_cbranch_execz .LBB4_122
	s_branch .LBB4_123
.LBB4_121:
                                        ; implicit-def: $vgpr4_vgpr5
.LBB4_122:
	v_mad_u64_u32 v[4:5], s[0:1], v6, s18, 0
	v_mov_b32_e32 v8, v5
	v_mad_u64_u32 v[6:7], s[0:1], v6, s19, v[8:9]
	v_mov_b32_e32 v5, v6
	v_lshlrev_b64 v[4:5], 2, v[4:5]
	v_add_co_u32_e32 v4, vcc, v9, v4
	v_addc_co_u32_e32 v5, vcc, v10, v5, vcc
	v_add_co_u32_e32 v4, vcc, 0x300, v4
	v_addc_co_u32_e32 v5, vcc, 0, v5, vcc
.LBB4_123:
	global_load_dword v4, v[4:5], off
	s_waitcnt vmcnt(0)
	v_cmp_neq_f32_e32 vcc, 0, v4
	v_addc_co_u32_e32 v3, vcc, 0, v3, vcc
.LBB4_124:
	s_or_b64 exec, exec, s[2:3]
.LBB4_125:
	s_or_b64 exec, exec, s[4:5]
.LBB4_126:
	v_lshlrev_b32_e32 v4, 2, v25
	s_mov_b32 s0, 0x1fffff00
	v_and_or_b32 v5, v4, s0, v27
	s_movk_i32 s0, 0x100
	v_lshlrev_b32_e32 v5, 2, v5
	v_cmp_gt_u32_e32 vcc, s0, v25
	ds_write2st64_b32 v5, v0, v1 offset1:1
	ds_write2st64_b32 v5, v2, v3 offset0:2 offset1:3
	s_waitcnt lgkmcnt(0)
	s_barrier
	s_and_saveexec_b64 s[0:1], vcc
	s_cbranch_execz .LBB4_129
; %bb.127:
	ds_read2st64_b32 v[2:3], v4 offset1:4
	ds_read2st64_b32 v[6:7], v4 offset0:8 offset1:12
	ds_read2st64_b32 v[8:9], v4 offset0:16 offset1:20
	;; [unrolled: 1-line block ×3, first 2 shown]
	v_add_u32_e32 v0, s15, v25
	s_waitcnt lgkmcnt(3)
	v_add_u32_e32 v1, v2, v3
	s_waitcnt lgkmcnt(2)
	v_add3_u32 v1, v1, v6, v7
	s_waitcnt lgkmcnt(1)
	v_add3_u32 v1, v1, v8, v9
	ds_read2st64_b32 v[2:3], v4 offset0:32 offset1:36
	ds_read2st64_b32 v[6:7], v4 offset0:40 offset1:44
	;; [unrolled: 1-line block ×4, first 2 shown]
	s_waitcnt lgkmcnt(4)
	v_add3_u32 v1, v1, v10, v11
	s_waitcnt lgkmcnt(3)
	v_add3_u32 v1, v1, v2, v3
	;; [unrolled: 2-line block ×5, first 2 shown]
	v_cmp_gt_i32_e32 vcc, s13, v0
	ds_write_b32 v4, v2
	s_and_b64 exec, exec, vcc
	s_cbranch_execz .LBB4_129
; %bb.128:
	v_ashrrev_i32_e32 v1, 31, v0
	v_lshlrev_b64 v[0:1], 2, v[0:1]
	v_mov_b32_e32 v3, s21
	v_add_co_u32_e32 v0, vcc, s20, v0
	v_addc_co_u32_e32 v1, vcc, v3, v1, vcc
	global_store_dword v[0:1], v2, off
.LBB4_129:
	s_endpgm
	.section	.rodata,"a",@progbits
	.p2align	6, 0x0
	.amdhsa_kernel _ZN9rocsparseL14nnz_kernel_rowILi64ELi16EiifEEv16rocsparse_order_T2_S2_PKT3_lPT1_
		.amdhsa_group_segment_fixed_size 16384
		.amdhsa_private_segment_fixed_size 0
		.amdhsa_kernarg_size 296
		.amdhsa_user_sgpr_count 6
		.amdhsa_user_sgpr_private_segment_buffer 1
		.amdhsa_user_sgpr_dispatch_ptr 0
		.amdhsa_user_sgpr_queue_ptr 0
		.amdhsa_user_sgpr_kernarg_segment_ptr 1
		.amdhsa_user_sgpr_dispatch_id 0
		.amdhsa_user_sgpr_flat_scratch_init 0
		.amdhsa_user_sgpr_kernarg_preload_length 0
		.amdhsa_user_sgpr_kernarg_preload_offset 0
		.amdhsa_user_sgpr_private_segment_size 0
		.amdhsa_uses_dynamic_stack 0
		.amdhsa_system_sgpr_private_segment_wavefront_offset 0
		.amdhsa_system_sgpr_workgroup_id_x 1
		.amdhsa_system_sgpr_workgroup_id_y 0
		.amdhsa_system_sgpr_workgroup_id_z 0
		.amdhsa_system_sgpr_workgroup_info 0
		.amdhsa_system_vgpr_workitem_id 1
		.amdhsa_next_free_vgpr 34
		.amdhsa_next_free_sgpr 34
		.amdhsa_accum_offset 36
		.amdhsa_reserve_vcc 1
		.amdhsa_reserve_flat_scratch 0
		.amdhsa_float_round_mode_32 0
		.amdhsa_float_round_mode_16_64 0
		.amdhsa_float_denorm_mode_32 3
		.amdhsa_float_denorm_mode_16_64 3
		.amdhsa_dx10_clamp 1
		.amdhsa_ieee_mode 1
		.amdhsa_fp16_overflow 0
		.amdhsa_tg_split 0
		.amdhsa_exception_fp_ieee_invalid_op 0
		.amdhsa_exception_fp_denorm_src 0
		.amdhsa_exception_fp_ieee_div_zero 0
		.amdhsa_exception_fp_ieee_overflow 0
		.amdhsa_exception_fp_ieee_underflow 0
		.amdhsa_exception_fp_ieee_inexact 0
		.amdhsa_exception_int_div_zero 0
	.end_amdhsa_kernel
	.section	.text._ZN9rocsparseL14nnz_kernel_rowILi64ELi16EiifEEv16rocsparse_order_T2_S2_PKT3_lPT1_,"axG",@progbits,_ZN9rocsparseL14nnz_kernel_rowILi64ELi16EiifEEv16rocsparse_order_T2_S2_PKT3_lPT1_,comdat
.Lfunc_end4:
	.size	_ZN9rocsparseL14nnz_kernel_rowILi64ELi16EiifEEv16rocsparse_order_T2_S2_PKT3_lPT1_, .Lfunc_end4-_ZN9rocsparseL14nnz_kernel_rowILi64ELi16EiifEEv16rocsparse_order_T2_S2_PKT3_lPT1_
                                        ; -- End function
	.section	.AMDGPU.csdata,"",@progbits
; Kernel info:
; codeLenInByte = 4396
; NumSgprs: 38
; NumVgprs: 34
; NumAgprs: 0
; TotalNumVgprs: 34
; ScratchSize: 0
; MemoryBound: 0
; FloatMode: 240
; IeeeMode: 1
; LDSByteSize: 16384 bytes/workgroup (compile time only)
; SGPRBlocks: 4
; VGPRBlocks: 4
; NumSGPRsForWavesPerEU: 38
; NumVGPRsForWavesPerEU: 34
; AccumOffset: 36
; Occupancy: 8
; WaveLimiterHint : 0
; COMPUTE_PGM_RSRC2:SCRATCH_EN: 0
; COMPUTE_PGM_RSRC2:USER_SGPR: 6
; COMPUTE_PGM_RSRC2:TRAP_HANDLER: 0
; COMPUTE_PGM_RSRC2:TGID_X_EN: 1
; COMPUTE_PGM_RSRC2:TGID_Y_EN: 0
; COMPUTE_PGM_RSRC2:TGID_Z_EN: 0
; COMPUTE_PGM_RSRC2:TIDIG_COMP_CNT: 1
; COMPUTE_PGM_RSRC3_GFX90A:ACCUM_OFFSET: 8
; COMPUTE_PGM_RSRC3_GFX90A:TG_SPLIT: 0
	.section	.text._ZN9rocsparseL14nnz_kernel_colILi256EiifEEv16rocsparse_order_T1_S2_PKT2_lPT0_,"axG",@progbits,_ZN9rocsparseL14nnz_kernel_colILi256EiifEEv16rocsparse_order_T1_S2_PKT2_lPT0_,comdat
	.globl	_ZN9rocsparseL14nnz_kernel_colILi256EiifEEv16rocsparse_order_T1_S2_PKT2_lPT0_ ; -- Begin function _ZN9rocsparseL14nnz_kernel_colILi256EiifEEv16rocsparse_order_T1_S2_PKT2_lPT0_
	.p2align	8
	.type	_ZN9rocsparseL14nnz_kernel_colILi256EiifEEv16rocsparse_order_T1_S2_PKT2_lPT0_,@function
_ZN9rocsparseL14nnz_kernel_colILi256EiifEEv16rocsparse_order_T1_S2_PKT2_lPT0_: ; @_ZN9rocsparseL14nnz_kernel_colILi256EiifEEv16rocsparse_order_T1_S2_PKT2_lPT0_
; %bb.0:
	s_load_dwordx2 s[8:9], s[4:5], 0x0
	s_load_dwordx4 s[0:3], s[4:5], 0x10
	s_waitcnt lgkmcnt(0)
	s_ashr_i32 s7, s9, 31
	s_lshr_b32 s7, s7, 24
	s_add_i32 s7, s9, s7
	s_and_b32 s10, s7, 0xffffff00
	s_cmp_eq_u32 s8, 1
	s_cbranch_scc1 .LBB5_6
; %bb.1:
	s_cmpk_lt_i32 s9, 0x100
	v_mov_b32_e32 v1, 0
	s_cbranch_scc1 .LBB5_7
; %bb.2:
	v_mad_u64_u32 v[2:3], s[12:13], s2, v0, 0
	v_mov_b32_e32 v4, v3
	s_ashr_i32 s7, s6, 31
	v_mad_u64_u32 v[4:5], s[12:13], s3, v0, v[4:5]
	s_lshl_b64 s[12:13], s[6:7], 2
	v_mov_b32_e32 v3, v4
	s_add_u32 s7, s0, s12
	v_lshlrev_b64 v[2:3], 2, v[2:3]
	s_addc_u32 s8, s1, s13
	v_mov_b32_e32 v1, s8
	v_add_co_u32_e32 v2, vcc, s7, v2
	s_lshl_b64 s[12:13], s[2:3], 10
	v_addc_co_u32_e32 v3, vcc, v1, v3, vcc
	s_mov_b32 s7, 0
	v_mov_b32_e32 v1, 0
	v_mov_b32_e32 v4, s13
	s_branch .LBB5_4
.LBB5_3:                                ;   in Loop: Header=BB5_4 Depth=1
	s_or_b64 exec, exec, s[14:15]
	s_addk_i32 s7, 0x100
	v_add_co_u32_e32 v2, vcc, s12, v2
	s_cmp_ge_i32 s7, s10
	v_addc_co_u32_e32 v3, vcc, v3, v4, vcc
	s_cbranch_scc1 .LBB5_7
.LBB5_4:                                ; =>This Inner Loop Header: Depth=1
	v_add_u32_e32 v5, s7, v0
	v_cmp_gt_i32_e32 vcc, s9, v5
	s_and_saveexec_b64 s[14:15], vcc
	s_cbranch_execz .LBB5_3
; %bb.5:                                ;   in Loop: Header=BB5_4 Depth=1
	global_load_dword v5, v[2:3], off
	s_waitcnt vmcnt(0)
	v_cmp_neq_f32_e32 vcc, 0, v5
	v_addc_co_u32_e32 v1, vcc, 0, v1, vcc
	s_branch .LBB5_3
.LBB5_6:
	s_mov_b64 s[12:13], 0
                                        ; implicit-def: $vgpr1
                                        ; implicit-def: $vgpr2_vgpr3
	s_cbranch_execnz .LBB5_10
	s_branch .LBB5_21
.LBB5_7:
	v_add_u32_e32 v4, s10, v0
	v_cmp_gt_i32_e32 vcc, s9, v4
	s_mov_b64 s[14:15], 0
	s_mov_b64 s[12:13], 0
                                        ; implicit-def: $vgpr2_vgpr3
	s_and_saveexec_b64 s[16:17], vcc
	s_xor_b64 s[16:17], exec, s[16:17]
	s_cbranch_execz .LBB5_9
; %bb.8:
	v_ashrrev_i32_e32 v2, 31, v4
	s_ashr_i32 s7, s6, 31
	v_mul_lo_u32 v6, v2, s2
	v_mad_u64_u32 v[2:3], s[18:19], v4, s2, 0
	v_mul_lo_u32 v5, v4, s3
	s_lshl_b64 s[18:19], s[6:7], 2
	v_add3_u32 v3, v3, v5, v6
	s_add_u32 s7, s18, s0
	v_lshlrev_b64 v[2:3], 2, v[2:3]
	s_addc_u32 s8, s19, s1
	v_mov_b32_e32 v4, s8
	v_add_co_u32_e32 v2, vcc, s7, v2
	s_mov_b64 s[12:13], exec
	v_addc_co_u32_e32 v3, vcc, v4, v3, vcc
.LBB5_9:
	s_or_b64 exec, exec, s[16:17]
	s_and_b64 vcc, exec, s[14:15]
	s_cbranch_vccz .LBB5_21
.LBB5_10:
	s_ashr_i32 s7, s6, 31
	s_mul_i32 s3, s6, s3
	s_mul_hi_u32 s8, s6, s2
	s_add_i32 s3, s8, s3
	s_mul_i32 s7, s7, s2
	s_add_i32 s3, s3, s7
	s_mul_i32 s2, s6, s2
	v_cmp_gt_i32_e32 vcc, s9, v0
	s_lshl_b64 s[2:3], s[2:3], 2
	v_cndmask_b32_e32 v2, 0, v0, vcc
	s_add_u32 s7, s0, s2
	s_addc_u32 s8, s1, s3
	v_lshlrev_b32_e32 v2, 2, v2
	v_mov_b32_e32 v3, s8
	v_add_co_u32_e32 v4, vcc, s7, v2
	v_mov_b32_e32 v1, 0
	s_mov_b32 s14, 0
	s_cmpk_lt_i32 s9, 0x100
	v_addc_co_u32_e32 v5, vcc, 0, v3, vcc
	s_cbranch_scc1 .LBB5_18
; %bb.11:
	s_max_i32 s7, s10, 0x100
	s_add_i32 s7, s7, -1
	s_cmpk_lg_i32 s7, 0xff
	v_mov_b32_e32 v1, 0
	s_cbranch_scc0 .LBB5_15
; %bb.12:
	s_lshr_b32 s7, s7, 8
	s_add_i32 s7, s7, 1
	s_and_b32 s8, s7, 0x1fffffe
	s_mov_b32 s17, 0
	s_movk_i32 s14, 0x100
	v_mov_b32_e32 v1, 0
	s_mov_b32 s11, s8
	s_mov_b32 s16, s17
	v_mov_b32_e32 v3, 0
.LBB5_13:                               ; =>This Inner Loop Header: Depth=1
	s_lshl_b64 s[18:19], s[16:17], 2
	s_mov_b32 s15, s17
	v_mov_b32_e32 v7, s19
	v_add_co_u32_e32 v6, vcc, s18, v4
	s_lshl_b64 s[20:21], s[14:15], 2
	v_addc_co_u32_e32 v7, vcc, v5, v7, vcc
	v_mov_b32_e32 v9, s21
	v_add_co_u32_e32 v8, vcc, s20, v4
	global_load_dword v6, v[6:7], off
	v_addc_co_u32_e32 v9, vcc, v5, v9, vcc
	global_load_dword v7, v[8:9], off
	s_addk_i32 s16, 0x200
	s_add_i32 s11, s11, -2
	s_addk_i32 s14, 0x200
	s_cmp_lg_u32 s11, 0
	s_waitcnt vmcnt(1)
	v_cmp_neq_f32_e32 vcc, 0, v6
	v_addc_co_u32_e32 v1, vcc, 0, v1, vcc
	s_waitcnt vmcnt(0)
	v_cmp_neq_f32_e32 vcc, 0, v7
	v_addc_co_u32_e32 v3, vcc, 0, v3, vcc
	s_cbranch_scc1 .LBB5_13
; %bb.14:
	s_lshl_b32 s14, s8, 8
	s_cmp_lg_u32 s7, s8
	v_add_u32_e32 v1, v1, v3
	s_cselect_b64 s[16:17], -1, 0
	s_and_b64 vcc, exec, s[16:17]
	s_cbranch_vccnz .LBB5_16
	s_branch .LBB5_18
.LBB5_15:
	s_cbranch_execz .LBB5_18
.LBB5_16:
	s_mov_b32 s15, 0
	s_lshl_b64 s[16:17], s[14:15], 2
	s_add_u32 s0, s0, s16
	s_addc_u32 s1, s1, s17
	s_add_u32 s0, s0, s2
	s_addc_u32 s1, s1, s3
	v_mov_b32_e32 v3, s1
	v_add_co_u32_e32 v2, vcc, s0, v2
	v_addc_co_u32_e32 v3, vcc, 0, v3, vcc
.LBB5_17:                               ; =>This Inner Loop Header: Depth=1
	global_load_dword v6, v[2:3], off
	v_add_co_u32_e32 v2, vcc, 0x400, v2
	v_addc_co_u32_e32 v3, vcc, 0, v3, vcc
	s_addk_i32 s14, 0x100
	s_cmp_ge_i32 s14, s10
	s_waitcnt vmcnt(0)
	v_cmp_neq_f32_e32 vcc, 0, v6
	v_addc_co_u32_e32 v1, vcc, 0, v1, vcc
	s_cbranch_scc0 .LBB5_17
.LBB5_18:
	v_add_u32_e32 v2, s10, v0
	v_cmp_gt_i32_e32 vcc, s9, v2
                                        ; implicit-def: $vgpr2_vgpr3
	s_and_saveexec_b64 s[0:1], vcc
; %bb.19:
	s_ashr_i32 s11, s10, 31
	s_lshl_b64 s[2:3], s[10:11], 2
	v_mov_b32_e32 v3, s3
	v_add_co_u32_e32 v2, vcc, s2, v4
	v_addc_co_u32_e32 v3, vcc, v5, v3, vcc
	s_or_b64 s[12:13], s[12:13], exec
; %bb.20:
	s_or_b64 exec, exec, s[0:1]
.LBB5_21:
	s_and_saveexec_b64 s[0:1], s[12:13]
	s_cbranch_execz .LBB5_23
; %bb.22:
	global_load_dword v2, v[2:3], off
	s_waitcnt vmcnt(0)
	v_cmp_neq_f32_e32 vcc, 0, v2
	v_addc_co_u32_e32 v1, vcc, 0, v1, vcc
.LBB5_23:
	s_or_b64 exec, exec, s[0:1]
	v_lshlrev_b32_e32 v3, 2, v0
	s_cmpk_lt_i32 s9, 0x100
	s_mov_b64 s[0:1], -1
	v_cmp_eq_u32_e32 vcc, 0, v0
	ds_write_b32 v3, v1
	s_waitcnt lgkmcnt(0)
	s_cbranch_scc1 .LBB5_27
; %bb.24:
	s_and_b64 vcc, exec, s[0:1]
	s_cbranch_vccnz .LBB5_42
.LBB5_25:
	v_cmp_eq_u32_e32 vcc, 0, v0
	s_and_saveexec_b64 s[0:1], vcc
	s_cbranch_execnz .LBB5_59
.LBB5_26:
	s_endpgm
.LBB5_27:
	s_cmp_gt_i32 s9, 1
	s_cselect_b64 s[0:1], -1, 0
	s_mov_b32 s7, 1
	s_and_b64 s[2:3], vcc, s[0:1]
	s_barrier
	s_and_saveexec_b64 s[0:1], s[2:3]
	s_cbranch_execz .LBB5_41
; %bb.28:
	v_mov_b32_e32 v1, 0
	ds_read_b32 v2, v1
	s_cmp_lt_u32 s9, 5
	s_cbranch_scc1 .LBB5_33
; %bb.29:
	s_add_i32 s8, s9, -5
	s_lshr_b32 s7, s8, 2
	s_add_i32 s7, s7, 1
	s_mov_b32 s2, 0
	s_cmp_lt_u32 s8, 28
	s_cbranch_scc1 .LBB5_34
; %bb.30:
	s_and_b32 s3, s7, 0x7ffffff8
	s_mov_b32 s8, 4
	v_mov_b32_e32 v1, 0
	v_mov_b32_e32 v4, 0
	;; [unrolled: 1-line block ×3, first 2 shown]
.LBB5_31:                               ; =>This Inner Loop Header: Depth=1
	v_mov_b32_e32 v36, s8
	ds_read2_b32 v[6:7], v36 offset1:1
	ds_read2_b32 v[8:9], v36 offset0:2 offset1:3
	ds_read2_b32 v[10:11], v36 offset0:4 offset1:5
	ds_read2_b32 v[12:13], v36 offset0:6 offset1:7
	ds_read2_b32 v[14:15], v36 offset0:8 offset1:9
	ds_read2_b32 v[16:17], v36 offset0:10 offset1:11
	ds_read2_b32 v[18:19], v36 offset0:12 offset1:13
	ds_read2_b32 v[20:21], v36 offset0:14 offset1:15
	ds_read2_b32 v[22:23], v36 offset0:16 offset1:17
	ds_read2_b32 v[24:25], v36 offset0:18 offset1:19
	ds_read2_b32 v[26:27], v36 offset0:20 offset1:21
	ds_read2_b32 v[28:29], v36 offset0:22 offset1:23
	ds_read2_b32 v[30:31], v36 offset0:24 offset1:25
	ds_read2_b32 v[32:33], v36 offset0:26 offset1:27
	ds_read2_b32 v[34:35], v36 offset0:28 offset1:29
	ds_read2_b32 v[36:37], v36 offset0:30 offset1:31
	s_waitcnt lgkmcnt(14)
	v_add_u32_e32 v2, v2, v6
	v_add_u32_e32 v1, v1, v7
	;; [unrolled: 1-line block ×4, first 2 shown]
	s_waitcnt lgkmcnt(13)
	v_add_u32_e32 v1, v1, v11
	v_add_u32_e32 v2, v2, v10
	s_waitcnt lgkmcnt(12)
	v_add_u32_e32 v5, v5, v13
	v_add_u32_e32 v4, v4, v12
	;; [unrolled: 3-line block ×10, first 2 shown]
	s_add_i32 s2, s2, 32
	s_addk_i32 s8, 0x80
	s_add_i32 s3, s3, -8
	s_waitcnt lgkmcnt(3)
	v_add_u32_e32 v2, v2, v30
	v_add_u32_e32 v1, v1, v31
	s_waitcnt lgkmcnt(2)
	v_add_u32_e32 v4, v4, v32
	v_add_u32_e32 v5, v5, v33
	s_cmp_lg_u32 s3, 0
	s_waitcnt lgkmcnt(1)
	v_add_u32_e32 v1, v1, v35
	v_add_u32_e32 v2, v2, v34
	s_waitcnt lgkmcnt(0)
	v_add_u32_e32 v5, v5, v37
	v_add_u32_e32 v4, v4, v36
	s_cbranch_scc1 .LBB5_31
; %bb.32:
	s_and_b32 s3, s7, 7
	s_cmp_eq_u32 s3, 0
	s_cbranch_scc0 .LBB5_35
	s_branch .LBB5_37
.LBB5_33:
	s_cbranch_execnz .LBB5_38
	s_branch .LBB5_40
.LBB5_34:
	s_mov_b32 s3, s2
	v_pk_mov_b32 v[4:5], s[2:3], s[2:3] op_sel:[0,1]
	s_and_b32 s3, s7, 7
	s_cmp_eq_u32 s3, 0
	s_cbranch_scc1 .LBB5_37
.LBB5_35:
	s_lshl_b32 s2, s2, 2
	s_add_i32 s2, s2, 4
.LBB5_36:                               ; =>This Inner Loop Header: Depth=1
	v_mov_b32_e32 v8, s2
	ds_read2_b32 v[6:7], v8 offset1:1
	ds_read2_b32 v[8:9], v8 offset0:2 offset1:3
	s_add_i32 s2, s2, 16
	s_add_i32 s3, s3, -1
	s_cmp_lg_u32 s3, 0
	s_waitcnt lgkmcnt(1)
	v_add_u32_e32 v1, v1, v7
	v_add_u32_e32 v2, v2, v6
	s_waitcnt lgkmcnt(0)
	v_add_u32_e32 v5, v5, v9
	v_add_u32_e32 v4, v4, v8
	s_cbranch_scc1 .LBB5_36
.LBB5_37:
	s_add_i32 s2, s9, -1
	s_and_b32 s3, s2, -4
	s_or_b32 s7, s3, 1
	v_add_u32_e32 v1, v5, v1
	s_waitcnt lgkmcnt(0)
	v_add_u32_e32 v2, v4, v2
	s_cmp_lg_u32 s2, s3
	v_add_u32_e32 v2, v2, v1
	s_cselect_b64 s[2:3], -1, 0
	s_and_b64 vcc, exec, s[2:3]
	s_cbranch_vccz .LBB5_40
.LBB5_38:
	s_sub_i32 s2, s9, s7
	s_lshl_b32 s3, s7, 2
.LBB5_39:                               ; =>This Inner Loop Header: Depth=1
	v_mov_b32_e32 v1, s3
	ds_read_b32 v1, v1
	s_add_i32 s2, s2, -1
	s_add_i32 s3, s3, 4
	s_cmp_lg_u32 s2, 0
	s_waitcnt lgkmcnt(0)
	v_add_u32_e32 v2, v2, v1
	s_cbranch_scc1 .LBB5_39
.LBB5_40:
	v_mov_b32_e32 v1, 0
	s_waitcnt lgkmcnt(0)
	ds_write_b32 v1, v2
.LBB5_41:
	s_or_b64 exec, exec, s[0:1]
	s_waitcnt lgkmcnt(0)
	s_barrier
	s_branch .LBB5_25
.LBB5_42:
	s_movk_i32 s0, 0x80
	v_cmp_gt_u32_e32 vcc, s0, v0
	s_barrier
	s_and_saveexec_b64 s[0:1], vcc
	s_cbranch_execz .LBB5_44
; %bb.43:
	ds_read2st64_b32 v[4:5], v3 offset1:2
	s_waitcnt lgkmcnt(0)
	v_add_u32_e32 v1, v4, v5
	ds_write_b32 v3, v1
.LBB5_44:
	s_or_b64 exec, exec, s[0:1]
	v_cmp_gt_u32_e32 vcc, 64, v0
	s_waitcnt lgkmcnt(0)
	s_barrier
	s_and_saveexec_b64 s[0:1], vcc
	s_cbranch_execz .LBB5_46
; %bb.45:
	ds_read2st64_b32 v[4:5], v3 offset1:1
	s_waitcnt lgkmcnt(0)
	v_add_u32_e32 v1, v4, v5
	ds_write_b32 v3, v1
.LBB5_46:
	s_or_b64 exec, exec, s[0:1]
	v_cmp_gt_u32_e32 vcc, 32, v0
	s_waitcnt lgkmcnt(0)
	s_barrier
	s_and_saveexec_b64 s[0:1], vcc
	s_cbranch_execz .LBB5_48
; %bb.47:
	ds_read2_b32 v[4:5], v3 offset1:32
	s_waitcnt lgkmcnt(0)
	v_add_u32_e32 v1, v4, v5
	ds_write_b32 v3, v1
.LBB5_48:
	s_or_b64 exec, exec, s[0:1]
	v_cmp_gt_u32_e32 vcc, 16, v0
	s_waitcnt lgkmcnt(0)
	s_barrier
	s_and_saveexec_b64 s[0:1], vcc
	s_cbranch_execz .LBB5_50
; %bb.49:
	ds_read2_b32 v[4:5], v3 offset1:16
	s_waitcnt lgkmcnt(0)
	v_add_u32_e32 v1, v4, v5
	ds_write_b32 v3, v1
.LBB5_50:
	;; [unrolled: 12-line block ×5, first 2 shown]
	s_or_b64 exec, exec, s[0:1]
	v_cmp_eq_u32_e32 vcc, 0, v0
	s_waitcnt lgkmcnt(0)
	s_barrier
	s_and_saveexec_b64 s[0:1], vcc
	s_cbranch_execz .LBB5_58
; %bb.57:
	v_mov_b32_e32 v1, 0
	ds_read_b64 v[2:3], v1
	s_waitcnt lgkmcnt(0)
	v_add_u32_e32 v2, v2, v3
	ds_write_b32 v1, v2
.LBB5_58:
	s_or_b64 exec, exec, s[0:1]
	s_waitcnt lgkmcnt(0)
	s_barrier
	v_cmp_eq_u32_e32 vcc, 0, v0
	s_and_saveexec_b64 s[0:1], vcc
	s_cbranch_execz .LBB5_26
.LBB5_59:
	s_load_dwordx2 s[0:1], s[4:5], 0x20
	v_mov_b32_e32 v0, 0
	ds_read_b32 v1, v0
	s_ashr_i32 s7, s6, 31
	s_lshl_b64 s[2:3], s[6:7], 2
	s_waitcnt lgkmcnt(0)
	s_add_u32 s0, s0, s2
	s_addc_u32 s1, s1, s3
	global_store_dword v0, v1, s[0:1]
	s_endpgm
	.section	.rodata,"a",@progbits
	.p2align	6, 0x0
	.amdhsa_kernel _ZN9rocsparseL14nnz_kernel_colILi256EiifEEv16rocsparse_order_T1_S2_PKT2_lPT0_
		.amdhsa_group_segment_fixed_size 1024
		.amdhsa_private_segment_fixed_size 0
		.amdhsa_kernarg_size 40
		.amdhsa_user_sgpr_count 6
		.amdhsa_user_sgpr_private_segment_buffer 1
		.amdhsa_user_sgpr_dispatch_ptr 0
		.amdhsa_user_sgpr_queue_ptr 0
		.amdhsa_user_sgpr_kernarg_segment_ptr 1
		.amdhsa_user_sgpr_dispatch_id 0
		.amdhsa_user_sgpr_flat_scratch_init 0
		.amdhsa_user_sgpr_kernarg_preload_length 0
		.amdhsa_user_sgpr_kernarg_preload_offset 0
		.amdhsa_user_sgpr_private_segment_size 0
		.amdhsa_uses_dynamic_stack 0
		.amdhsa_system_sgpr_private_segment_wavefront_offset 0
		.amdhsa_system_sgpr_workgroup_id_x 1
		.amdhsa_system_sgpr_workgroup_id_y 0
		.amdhsa_system_sgpr_workgroup_id_z 0
		.amdhsa_system_sgpr_workgroup_info 0
		.amdhsa_system_vgpr_workitem_id 0
		.amdhsa_next_free_vgpr 38
		.amdhsa_next_free_sgpr 22
		.amdhsa_accum_offset 40
		.amdhsa_reserve_vcc 1
		.amdhsa_reserve_flat_scratch 0
		.amdhsa_float_round_mode_32 0
		.amdhsa_float_round_mode_16_64 0
		.amdhsa_float_denorm_mode_32 3
		.amdhsa_float_denorm_mode_16_64 3
		.amdhsa_dx10_clamp 1
		.amdhsa_ieee_mode 1
		.amdhsa_fp16_overflow 0
		.amdhsa_tg_split 0
		.amdhsa_exception_fp_ieee_invalid_op 0
		.amdhsa_exception_fp_denorm_src 0
		.amdhsa_exception_fp_ieee_div_zero 0
		.amdhsa_exception_fp_ieee_overflow 0
		.amdhsa_exception_fp_ieee_underflow 0
		.amdhsa_exception_fp_ieee_inexact 0
		.amdhsa_exception_int_div_zero 0
	.end_amdhsa_kernel
	.section	.text._ZN9rocsparseL14nnz_kernel_colILi256EiifEEv16rocsparse_order_T1_S2_PKT2_lPT0_,"axG",@progbits,_ZN9rocsparseL14nnz_kernel_colILi256EiifEEv16rocsparse_order_T1_S2_PKT2_lPT0_,comdat
.Lfunc_end5:
	.size	_ZN9rocsparseL14nnz_kernel_colILi256EiifEEv16rocsparse_order_T1_S2_PKT2_lPT0_, .Lfunc_end5-_ZN9rocsparseL14nnz_kernel_colILi256EiifEEv16rocsparse_order_T1_S2_PKT2_lPT0_
                                        ; -- End function
	.section	.AMDGPU.csdata,"",@progbits
; Kernel info:
; codeLenInByte = 1944
; NumSgprs: 26
; NumVgprs: 38
; NumAgprs: 0
; TotalNumVgprs: 38
; ScratchSize: 0
; MemoryBound: 0
; FloatMode: 240
; IeeeMode: 1
; LDSByteSize: 1024 bytes/workgroup (compile time only)
; SGPRBlocks: 3
; VGPRBlocks: 4
; NumSGPRsForWavesPerEU: 26
; NumVGPRsForWavesPerEU: 38
; AccumOffset: 40
; Occupancy: 8
; WaveLimiterHint : 0
; COMPUTE_PGM_RSRC2:SCRATCH_EN: 0
; COMPUTE_PGM_RSRC2:USER_SGPR: 6
; COMPUTE_PGM_RSRC2:TRAP_HANDLER: 0
; COMPUTE_PGM_RSRC2:TGID_X_EN: 1
; COMPUTE_PGM_RSRC2:TGID_Y_EN: 0
; COMPUTE_PGM_RSRC2:TGID_Z_EN: 0
; COMPUTE_PGM_RSRC2:TIDIG_COMP_CNT: 0
; COMPUTE_PGM_RSRC3_GFX90A:ACCUM_OFFSET: 9
; COMPUTE_PGM_RSRC3_GFX90A:TG_SPLIT: 0
	.section	.text._ZN9rocsparseL14nnz_kernel_rowILi64ELi16EiidEEv16rocsparse_order_T2_S2_PKT3_lPT1_,"axG",@progbits,_ZN9rocsparseL14nnz_kernel_rowILi64ELi16EiidEEv16rocsparse_order_T2_S2_PKT3_lPT1_,comdat
	.globl	_ZN9rocsparseL14nnz_kernel_rowILi64ELi16EiidEEv16rocsparse_order_T2_S2_PKT3_lPT1_ ; -- Begin function _ZN9rocsparseL14nnz_kernel_rowILi64ELi16EiidEEv16rocsparse_order_T2_S2_PKT3_lPT1_
	.p2align	8
	.type	_ZN9rocsparseL14nnz_kernel_rowILi64ELi16EiidEEv16rocsparse_order_T2_S2_PKT3_lPT1_,@function
_ZN9rocsparseL14nnz_kernel_rowILi64ELi16EiidEEv16rocsparse_order_T2_S2_PKT3_lPT1_: ; @_ZN9rocsparseL14nnz_kernel_rowILi64ELi16EiidEEv16rocsparse_order_T2_S2_PKT3_lPT1_
; %bb.0:
	s_load_dword s0, s[4:5], 0x34
	s_load_dwordx2 s[20:21], s[4:5], 0x20
	s_load_dwordx8 s[12:19], s[4:5], 0x0
	v_and_b32_e32 v1, 0x3ff, v0
	v_bfe_u32 v0, v0, 10, 10
	s_waitcnt lgkmcnt(0)
	s_and_b32 s0, s0, 0xffff
	v_mad_u32_u24 v25, v0, s0, v1
	s_ashr_i32 s0, s14, 31
	s_lshr_b32 s0, s0, 26
	s_mov_b32 s8, 0
	v_and_b32_e32 v27, 63, v25
	s_lshl_b32 s15, s6, 8
	s_add_i32 s33, s14, s0
	v_lshrrev_b32_e32 v0, 4, v25
	s_mov_b32 s9, s8
	v_or_b32_e32 v10, s15, v27
	s_andn2_b32 s33, s33, 63
	v_and_b32_e32 v8, 0x7ffffc, v0
	s_mov_b32 s10, s8
	s_mov_b32 s11, s8
	v_pk_mov_b32 v[0:1], s[8:9], s[8:9] op_sel:[0,1]
	v_cmp_gt_i32_e32 vcc, s33, v8
	v_pk_mov_b32 v[2:3], s[10:11], s[10:11] op_sel:[0,1]
	v_or_b32_e32 v28, 64, v10
	s_and_saveexec_b64 s[22:23], vcc
	s_cbranch_execz .LBB6_28
; %bb.1:
	v_or_b32_e32 v0, 0x80, v10
	v_cmp_gt_i32_e64 s[4:5], s13, v0
	v_or_b32_e32 v0, 0xc0, v10
	v_cmp_gt_i32_e64 s[6:7], s13, v0
	v_add_u32_e32 v0, s15, v27
	v_ashrrev_i32_e32 v1, 31, v0
	v_mul_lo_u32 v4, s18, v1
	v_mul_lo_u32 v5, s19, v0
	v_mad_u64_u32 v[2:3], s[26:27], s18, v0, 0
	v_add3_u32 v3, v3, v4, v5
	v_lshrrev_b32_e32 v23, 6, v25
	v_lshlrev_b64 v[2:3], 3, v[2:3]
	v_lshlrev_b32_e32 v21, 5, v23
	v_lshlrev_b32_e32 v19, 2, v23
	v_add_co_u32_e32 v12, vcc, v2, v21
	v_or_b32_e32 v5, 3, v19
	v_addc_co_u32_e32 v9, vcc, 0, v3, vcc
	v_mad_u64_u32 v[2:3], s[26:27], s18, v5, 0
	v_mov_b32_e32 v4, v3
	v_mad_u64_u32 v[4:5], s[26:27], s19, v5, v[4:5]
	v_mov_b32_e32 v3, v4
	v_lshlrev_b64 v[2:3], 3, v[2:3]
	v_lshlrev_b64 v[4:5], 3, v[0:1]
	v_add_u32_e32 v1, 64, v0
	v_add_co_u32_e32 v14, vcc, v2, v4
	v_ashrrev_i32_e32 v2, 31, v1
	v_addc_co_u32_e32 v11, vcc, v3, v5, vcc
	v_mul_lo_u32 v6, s18, v2
	v_mul_lo_u32 v7, s19, v1
	v_mad_u64_u32 v[2:3], s[28:29], s18, v1, 0
	v_add3_u32 v3, v3, v6, v7
	v_lshlrev_b64 v[2:3], 3, v[2:3]
	v_add_co_u32_e32 v16, vcc, v2, v21
	v_or_b32_e32 v1, 2, v19
	v_addc_co_u32_e32 v13, vcc, 0, v3, vcc
	v_mad_u64_u32 v[2:3], s[28:29], s18, v1, 0
	v_mov_b32_e32 v6, v3
	v_mad_u64_u32 v[6:7], s[28:29], s19, v1, v[6:7]
	v_mov_b32_e32 v3, v6
	v_lshlrev_b64 v[2:3], 3, v[2:3]
	v_add_u32_e32 v1, 0x80, v0
	v_add_co_u32_e32 v18, vcc, v2, v4
	v_ashrrev_i32_e32 v2, 31, v1
	v_addc_co_u32_e32 v15, vcc, v3, v5, vcc
	v_mul_lo_u32 v6, s18, v2
	v_mul_lo_u32 v7, s19, v1
	v_mad_u64_u32 v[2:3], s[28:29], s18, v1, 0
	v_add3_u32 v3, v3, v6, v7
	v_lshlrev_b64 v[2:3], 3, v[2:3]
	v_add_co_u32_e32 v20, vcc, v2, v21
	v_addc_co_u32_e32 v17, vcc, 0, v3, vcc
	v_pk_mov_b32 v[2:3], s[18:19], s[18:19] op_sel:[0,1]
	v_mad_u64_u32 v[2:3], s[28:29], s18, v19, v[2:3]
	v_mov_b32_e32 v6, v3
	v_mad_u64_u32 v[6:7], s[28:29], s19, v19, v[6:7]
	v_mov_b32_e32 v3, v6
	v_lshlrev_b64 v[2:3], 3, v[2:3]
	v_add_u32_e32 v0, 0xc0, v0
	v_add_co_u32_e32 v22, vcc, v2, v4
	v_ashrrev_i32_e32 v1, 31, v0
	v_addc_co_u32_e32 v19, vcc, v3, v5, vcc
	v_mul_lo_u32 v2, s18, v1
	v_mul_lo_u32 v3, s19, v0
	v_mad_u64_u32 v[0:1], s[28:29], s18, v0, 0
	v_add3_u32 v1, v1, v2, v3
	v_lshlrev_b64 v[0:1], 3, v[0:1]
	v_add_co_u32_e32 v24, vcc, v0, v21
	v_addc_co_u32_e32 v21, vcc, 0, v1, vcc
	v_mad_u64_u32 v[0:1], s[28:29], s18, v23, 0
	v_mov_b32_e32 v2, v1
	v_mad_u64_u32 v[2:3], s[28:29], s19, v23, v[2:3]
	v_mov_b32_e32 v1, v2
	v_lshlrev_b64 v[0:1], 5, v[0:1]
	v_add_co_u32_e32 v26, vcc, v0, v4
	s_cmp_lg_u32 s12, 1
	v_addc_co_u32_e32 v23, vcc, v1, v5, vcc
	v_pk_mov_b32 v[0:1], s[8:9], s[8:9] op_sel:[0,1]
	s_cselect_b64 s[24:25], -1, 0
	v_cmp_gt_i32_e64 s[0:1], s13, v10
	v_cmp_gt_i32_e64 s[2:3], s13, v28
	s_lshl_b64 s[26:27], s[18:19], 9
	s_mov_b64 s[28:29], 0
	v_pk_mov_b32 v[2:3], s[10:11], s[10:11] op_sel:[0,1]
	s_branch .LBB6_4
.LBB6_2:                                ;   in Loop: Header=BB6_4 Depth=1
	v_pk_mov_b32 v[0:1], v[4:5], v[4:5] op_sel:[0,1]
	v_pk_mov_b32 v[2:3], v[6:7], v[6:7] op_sel:[0,1]
.LBB6_3:                                ;   in Loop: Header=BB6_4 Depth=1
	s_or_b64 exec, exec, s[10:11]
	v_add_co_u32_e32 v12, vcc, 0x200, v12
	v_addc_co_u32_e32 v9, vcc, 0, v9, vcc
	v_mov_b32_e32 v4, s27
	v_add_co_u32_e32 v14, vcc, s26, v14
	v_addc_co_u32_e32 v11, vcc, v11, v4, vcc
	v_add_co_u32_e32 v16, vcc, 0x200, v16
	v_addc_co_u32_e32 v13, vcc, 0, v13, vcc
	;; [unrolled: 2-line block ×5, first 2 shown]
	v_add_co_u32_e32 v24, vcc, 0x200, v24
	v_add_u32_e32 v8, 64, v8
	v_addc_co_u32_e32 v21, vcc, 0, v21, vcc
	v_cmp_le_i32_e32 vcc, s33, v8
	s_or_b64 s[28:29], vcc, s[28:29]
	v_add_co_u32_e32 v26, vcc, s26, v26
	v_addc_co_u32_e32 v23, vcc, v23, v4, vcc
	s_andn2_b64 exec, exec, s[28:29]
	s_cbranch_execz .LBB6_27
.LBB6_4:                                ; =>This Inner Loop Header: Depth=1
	v_cndmask_b32_e64 v4, 0, 1, s[24:25]
	v_cmp_ne_u32_e64 s[8:9], 1, v4
	s_and_saveexec_b64 s[10:11], s[0:1]
	s_cbranch_execnz .LBB6_8
; %bb.5:                                ;   in Loop: Header=BB6_4 Depth=1
	s_or_b64 exec, exec, s[10:11]
	s_and_saveexec_b64 s[10:11], s[2:3]
	s_cbranch_execnz .LBB6_13
.LBB6_6:                                ;   in Loop: Header=BB6_4 Depth=1
	s_or_b64 exec, exec, s[10:11]
	s_and_saveexec_b64 s[10:11], s[4:5]
	s_cbranch_execnz .LBB6_18
.LBB6_7:                                ;   in Loop: Header=BB6_4 Depth=1
	s_or_b64 exec, exec, s[10:11]
	s_and_saveexec_b64 s[10:11], s[6:7]
	s_cbranch_execz .LBB6_3
	s_branch .LBB6_23
.LBB6_8:                                ;   in Loop: Header=BB6_4 Depth=1
	s_and_b64 vcc, exec, s[8:9]
	v_add_u32_e32 v29, 1, v0
	s_cbranch_vccnz .LBB6_10
; %bb.9:                                ;   in Loop: Header=BB6_4 Depth=1
	v_mov_b32_e32 v5, s17
	v_add_co_u32_e32 v4, vcc, s16, v12
	v_addc_co_u32_e32 v5, vcc, v5, v9, vcc
	global_load_dwordx4 v[30:33], v[4:5], off
	global_load_dwordx4 v[34:37], v[4:5], off offset:16
	v_mov_b32_e32 v5, v1
	v_mov_b32_e32 v6, v2
	;; [unrolled: 1-line block ×3, first 2 shown]
	s_waitcnt vmcnt(1)
	v_cmp_neq_f64_e32 vcc, 0, v[30:31]
	v_cndmask_b32_e32 v4, v0, v29, vcc
	v_add_u32_e32 v30, 1, v4
	v_cmp_neq_f64_e32 vcc, 0, v[32:33]
	v_cndmask_b32_e32 v4, v4, v30, vcc
	v_add_u32_e32 v30, 1, v4
	s_waitcnt vmcnt(0)
	v_cmp_neq_f64_e32 vcc, 0, v[34:35]
	v_cndmask_b32_e32 v4, v4, v30, vcc
	v_add_u32_e32 v30, 1, v4
	v_cmp_neq_f64_e32 vcc, 0, v[36:37]
	v_cndmask_b32_e32 v4, v4, v30, vcc
	s_cbranch_execz .LBB6_11
	s_branch .LBB6_12
.LBB6_10:                               ;   in Loop: Header=BB6_4 Depth=1
                                        ; implicit-def: $vgpr4_vgpr5_vgpr6_vgpr7
.LBB6_11:                               ;   in Loop: Header=BB6_4 Depth=1
	v_mov_b32_e32 v36, s17
	v_add_co_u32_e32 v4, vcc, s16, v26
	v_addc_co_u32_e32 v5, vcc, v36, v23, vcc
	global_load_dwordx2 v[4:5], v[4:5], off
	v_add_co_u32_e32 v6, vcc, s16, v22
	v_addc_co_u32_e32 v7, vcc, v36, v19, vcc
	v_add_co_u32_e32 v30, vcc, s16, v18
	v_addc_co_u32_e32 v31, vcc, v36, v15, vcc
	global_load_dwordx2 v[32:33], v[6:7], off
	global_load_dwordx2 v[34:35], v[30:31], off
	v_add_co_u32_e32 v6, vcc, s16, v14
	v_addc_co_u32_e32 v7, vcc, v36, v11, vcc
	global_load_dwordx2 v[6:7], v[6:7], off
	s_waitcnt vmcnt(3)
	v_cmp_neq_f64_e32 vcc, 0, v[4:5]
	v_cndmask_b32_e32 v0, v0, v29, vcc
	v_add_u32_e32 v4, 1, v0
	s_waitcnt vmcnt(2)
	v_cmp_neq_f64_e32 vcc, 0, v[32:33]
	v_cndmask_b32_e32 v0, v0, v4, vcc
	v_add_u32_e32 v4, 1, v0
	;; [unrolled: 4-line block ×3, first 2 shown]
	s_waitcnt vmcnt(0)
	v_cmp_neq_f64_e32 vcc, 0, v[6:7]
	v_cndmask_b32_e32 v0, v0, v4, vcc
	v_pk_mov_b32 v[6:7], v[2:3], v[2:3] op_sel:[0,1]
	v_pk_mov_b32 v[4:5], v[0:1], v[0:1] op_sel:[0,1]
.LBB6_12:                               ;   in Loop: Header=BB6_4 Depth=1
	v_pk_mov_b32 v[0:1], v[4:5], v[4:5] op_sel:[0,1]
	v_pk_mov_b32 v[2:3], v[6:7], v[6:7] op_sel:[0,1]
	s_or_b64 exec, exec, s[10:11]
	s_and_saveexec_b64 s[10:11], s[2:3]
	s_cbranch_execz .LBB6_6
.LBB6_13:                               ;   in Loop: Header=BB6_4 Depth=1
	s_and_b64 vcc, exec, s[8:9]
	v_add_u32_e32 v29, 1, v1
	s_cbranch_vccnz .LBB6_15
; %bb.14:                               ;   in Loop: Header=BB6_4 Depth=1
	v_mov_b32_e32 v5, s17
	v_add_co_u32_e32 v4, vcc, s16, v16
	v_addc_co_u32_e32 v5, vcc, v5, v13, vcc
	global_load_dwordx4 v[30:33], v[4:5], off
	global_load_dwordx4 v[34:37], v[4:5], off offset:16
	v_mov_b32_e32 v4, v0
	v_mov_b32_e32 v6, v2
	;; [unrolled: 1-line block ×3, first 2 shown]
	s_waitcnt vmcnt(1)
	v_cmp_neq_f64_e32 vcc, 0, v[30:31]
	v_cndmask_b32_e32 v5, v1, v29, vcc
	v_add_u32_e32 v30, 1, v5
	v_cmp_neq_f64_e32 vcc, 0, v[32:33]
	v_cndmask_b32_e32 v5, v5, v30, vcc
	v_add_u32_e32 v30, 1, v5
	s_waitcnt vmcnt(0)
	v_cmp_neq_f64_e32 vcc, 0, v[34:35]
	v_cndmask_b32_e32 v5, v5, v30, vcc
	v_add_u32_e32 v30, 1, v5
	v_cmp_neq_f64_e32 vcc, 0, v[36:37]
	v_cndmask_b32_e32 v5, v5, v30, vcc
	s_cbranch_execz .LBB6_16
	s_branch .LBB6_17
.LBB6_15:                               ;   in Loop: Header=BB6_4 Depth=1
                                        ; implicit-def: $vgpr4_vgpr5_vgpr6_vgpr7
.LBB6_16:                               ;   in Loop: Header=BB6_4 Depth=1
	v_mov_b32_e32 v36, s17
	v_add_co_u32_e32 v4, vcc, s16, v26
	v_addc_co_u32_e32 v5, vcc, v36, v23, vcc
	global_load_dwordx2 v[4:5], v[4:5], off offset:512
	v_add_co_u32_e32 v6, vcc, s16, v22
	v_addc_co_u32_e32 v7, vcc, v36, v19, vcc
	v_add_co_u32_e32 v30, vcc, s16, v18
	v_addc_co_u32_e32 v31, vcc, v36, v15, vcc
	global_load_dwordx2 v[32:33], v[6:7], off offset:512
	global_load_dwordx2 v[34:35], v[30:31], off offset:512
	v_add_co_u32_e32 v6, vcc, s16, v14
	v_addc_co_u32_e32 v7, vcc, v36, v11, vcc
	global_load_dwordx2 v[6:7], v[6:7], off offset:512
	s_waitcnt vmcnt(3)
	v_cmp_neq_f64_e32 vcc, 0, v[4:5]
	v_cndmask_b32_e32 v1, v1, v29, vcc
	v_add_u32_e32 v4, 1, v1
	s_waitcnt vmcnt(2)
	v_cmp_neq_f64_e32 vcc, 0, v[32:33]
	v_cndmask_b32_e32 v1, v1, v4, vcc
	v_add_u32_e32 v4, 1, v1
	s_waitcnt vmcnt(1)
	v_cmp_neq_f64_e32 vcc, 0, v[34:35]
	v_cndmask_b32_e32 v1, v1, v4, vcc
	v_add_u32_e32 v4, 1, v1
	s_waitcnt vmcnt(0)
	v_cmp_neq_f64_e32 vcc, 0, v[6:7]
	v_cndmask_b32_e32 v1, v1, v4, vcc
	v_pk_mov_b32 v[6:7], v[2:3], v[2:3] op_sel:[0,1]
	v_pk_mov_b32 v[4:5], v[0:1], v[0:1] op_sel:[0,1]
.LBB6_17:                               ;   in Loop: Header=BB6_4 Depth=1
	v_pk_mov_b32 v[0:1], v[4:5], v[4:5] op_sel:[0,1]
	v_pk_mov_b32 v[2:3], v[6:7], v[6:7] op_sel:[0,1]
	s_or_b64 exec, exec, s[10:11]
	s_and_saveexec_b64 s[10:11], s[4:5]
	s_cbranch_execz .LBB6_7
.LBB6_18:                               ;   in Loop: Header=BB6_4 Depth=1
	s_and_b64 vcc, exec, s[8:9]
	v_add_u32_e32 v29, 1, v2
	s_cbranch_vccnz .LBB6_20
; %bb.19:                               ;   in Loop: Header=BB6_4 Depth=1
	v_mov_b32_e32 v5, s17
	v_add_co_u32_e32 v4, vcc, s16, v20
	v_addc_co_u32_e32 v5, vcc, v5, v17, vcc
	global_load_dwordx4 v[30:33], v[4:5], off
	global_load_dwordx4 v[34:37], v[4:5], off offset:16
	v_mov_b32_e32 v4, v0
	v_mov_b32_e32 v5, v1
	;; [unrolled: 1-line block ×3, first 2 shown]
	s_waitcnt vmcnt(1)
	v_cmp_neq_f64_e32 vcc, 0, v[30:31]
	v_cndmask_b32_e32 v6, v2, v29, vcc
	v_add_u32_e32 v30, 1, v6
	v_cmp_neq_f64_e32 vcc, 0, v[32:33]
	v_cndmask_b32_e32 v6, v6, v30, vcc
	v_add_u32_e32 v30, 1, v6
	s_waitcnt vmcnt(0)
	v_cmp_neq_f64_e32 vcc, 0, v[34:35]
	v_cndmask_b32_e32 v6, v6, v30, vcc
	v_add_u32_e32 v30, 1, v6
	v_cmp_neq_f64_e32 vcc, 0, v[36:37]
	v_cndmask_b32_e32 v6, v6, v30, vcc
	s_cbranch_execz .LBB6_21
	s_branch .LBB6_22
.LBB6_20:                               ;   in Loop: Header=BB6_4 Depth=1
                                        ; implicit-def: $vgpr4_vgpr5_vgpr6_vgpr7
.LBB6_21:                               ;   in Loop: Header=BB6_4 Depth=1
	v_mov_b32_e32 v36, s17
	v_add_co_u32_e32 v4, vcc, s16, v26
	v_addc_co_u32_e32 v5, vcc, v36, v23, vcc
	global_load_dwordx2 v[4:5], v[4:5], off offset:1024
	v_add_co_u32_e32 v6, vcc, s16, v22
	v_addc_co_u32_e32 v7, vcc, v36, v19, vcc
	v_add_co_u32_e32 v30, vcc, s16, v18
	v_addc_co_u32_e32 v31, vcc, v36, v15, vcc
	global_load_dwordx2 v[32:33], v[6:7], off offset:1024
	global_load_dwordx2 v[34:35], v[30:31], off offset:1024
	v_add_co_u32_e32 v6, vcc, s16, v14
	v_addc_co_u32_e32 v7, vcc, v36, v11, vcc
	global_load_dwordx2 v[6:7], v[6:7], off offset:1024
	s_waitcnt vmcnt(3)
	v_cmp_neq_f64_e32 vcc, 0, v[4:5]
	v_cndmask_b32_e32 v2, v2, v29, vcc
	v_add_u32_e32 v4, 1, v2
	s_waitcnt vmcnt(2)
	v_cmp_neq_f64_e32 vcc, 0, v[32:33]
	v_cndmask_b32_e32 v2, v2, v4, vcc
	v_add_u32_e32 v4, 1, v2
	;; [unrolled: 4-line block ×3, first 2 shown]
	s_waitcnt vmcnt(0)
	v_cmp_neq_f64_e32 vcc, 0, v[6:7]
	v_cndmask_b32_e32 v2, v2, v4, vcc
	v_pk_mov_b32 v[6:7], v[2:3], v[2:3] op_sel:[0,1]
	v_pk_mov_b32 v[4:5], v[0:1], v[0:1] op_sel:[0,1]
.LBB6_22:                               ;   in Loop: Header=BB6_4 Depth=1
	v_pk_mov_b32 v[0:1], v[4:5], v[4:5] op_sel:[0,1]
	v_pk_mov_b32 v[2:3], v[6:7], v[6:7] op_sel:[0,1]
	s_or_b64 exec, exec, s[10:11]
	s_and_saveexec_b64 s[10:11], s[6:7]
	s_cbranch_execz .LBB6_3
.LBB6_23:                               ;   in Loop: Header=BB6_4 Depth=1
	s_and_b64 vcc, exec, s[8:9]
	v_add_u32_e32 v29, 1, v3
	s_cbranch_vccnz .LBB6_25
; %bb.24:                               ;   in Loop: Header=BB6_4 Depth=1
	v_mov_b32_e32 v5, s17
	v_add_co_u32_e32 v4, vcc, s16, v24
	v_addc_co_u32_e32 v5, vcc, v5, v21, vcc
	global_load_dwordx4 v[30:33], v[4:5], off
	global_load_dwordx4 v[34:37], v[4:5], off offset:16
	v_mov_b32_e32 v4, v0
	v_mov_b32_e32 v5, v1
	;; [unrolled: 1-line block ×3, first 2 shown]
	s_waitcnt vmcnt(1)
	v_cmp_neq_f64_e32 vcc, 0, v[30:31]
	v_cndmask_b32_e32 v7, v3, v29, vcc
	v_add_u32_e32 v30, 1, v7
	v_cmp_neq_f64_e32 vcc, 0, v[32:33]
	v_cndmask_b32_e32 v7, v7, v30, vcc
	v_add_u32_e32 v30, 1, v7
	s_waitcnt vmcnt(0)
	v_cmp_neq_f64_e32 vcc, 0, v[34:35]
	v_cndmask_b32_e32 v7, v7, v30, vcc
	v_add_u32_e32 v30, 1, v7
	v_cmp_neq_f64_e32 vcc, 0, v[36:37]
	v_cndmask_b32_e32 v7, v7, v30, vcc
	s_cbranch_execnz .LBB6_2
	s_branch .LBB6_26
.LBB6_25:                               ;   in Loop: Header=BB6_4 Depth=1
                                        ; implicit-def: $vgpr4_vgpr5_vgpr6_vgpr7
.LBB6_26:                               ;   in Loop: Header=BB6_4 Depth=1
	v_mov_b32_e32 v36, s17
	v_add_co_u32_e32 v4, vcc, s16, v26
	v_addc_co_u32_e32 v5, vcc, v36, v23, vcc
	global_load_dwordx2 v[4:5], v[4:5], off offset:1536
	v_add_co_u32_e32 v6, vcc, s16, v22
	v_addc_co_u32_e32 v7, vcc, v36, v19, vcc
	v_add_co_u32_e32 v30, vcc, s16, v18
	v_addc_co_u32_e32 v31, vcc, v36, v15, vcc
	global_load_dwordx2 v[32:33], v[6:7], off offset:1536
	global_load_dwordx2 v[34:35], v[30:31], off offset:1536
	v_add_co_u32_e32 v6, vcc, s16, v14
	v_addc_co_u32_e32 v7, vcc, v36, v11, vcc
	global_load_dwordx2 v[6:7], v[6:7], off offset:1536
	s_waitcnt vmcnt(3)
	v_cmp_neq_f64_e32 vcc, 0, v[4:5]
	v_cndmask_b32_e32 v3, v3, v29, vcc
	v_add_u32_e32 v4, 1, v3
	s_waitcnt vmcnt(2)
	v_cmp_neq_f64_e32 vcc, 0, v[32:33]
	v_cndmask_b32_e32 v3, v3, v4, vcc
	v_add_u32_e32 v4, 1, v3
	;; [unrolled: 4-line block ×3, first 2 shown]
	s_waitcnt vmcnt(0)
	v_cmp_neq_f64_e32 vcc, 0, v[6:7]
	v_cndmask_b32_e32 v3, v3, v4, vcc
	v_pk_mov_b32 v[6:7], v[2:3], v[2:3] op_sel:[0,1]
	v_pk_mov_b32 v[4:5], v[0:1], v[0:1] op_sel:[0,1]
	s_branch .LBB6_2
.LBB6_27:
	s_or_b64 exec, exec, s[28:29]
.LBB6_28:
	s_or_b64 exec, exec, s[22:23]
	s_sub_i32 s0, s14, s33
	s_cmp_lt_i32 s0, 1
	s_cbranch_scc1 .LBB6_126
; %bb.29:
	v_mov_b32_e32 v9, 0
	v_lshlrev_b64 v[4:5], 3, v[8:9]
	s_cmp_eq_u32 s12, 1
	v_mov_b32_e32 v6, s17
	v_add_co_u32_e32 v9, vcc, s16, v4
	s_cselect_b64 s[2:3], -1, 0
	s_cmp_lg_u32 s12, 1
	v_addc_co_u32_e32 v12, vcc, v6, v5, vcc
	s_cselect_b64 s[0:1], -1, 0
	v_cmp_gt_i32_e32 vcc, s13, v10
	v_ashrrev_i32_e32 v11, 31, v10
	s_and_saveexec_b64 s[4:5], vcc
	s_cbranch_execz .LBB6_53
; %bb.30:
	v_mul_lo_u32 v6, v10, s19
	v_mul_lo_u32 v7, v11, s18
	v_mad_u64_u32 v[4:5], s[6:7], v10, s18, 0
	v_add3_u32 v5, v5, v6, v7
	v_lshlrev_b64 v[4:5], 3, v[4:5]
	v_add_co_u32_e32 v4, vcc, v9, v4
	v_addc_co_u32_e32 v5, vcc, v12, v5, vcc
	v_lshlrev_b64 v[6:7], 3, v[10:11]
	v_mov_b32_e32 v14, s17
	v_add_co_u32_e32 v13, vcc, s16, v6
	v_addc_co_u32_e32 v14, vcc, v14, v7, vcc
	v_cmp_gt_i32_e32 vcc, s14, v8
	s_and_saveexec_b64 s[6:7], vcc
	s_cbranch_execz .LBB6_34
; %bb.31:
	s_andn2_b64 vcc, exec, s[2:3]
	v_pk_mov_b32 v[6:7], v[4:5], v[4:5] op_sel:[0,1]
	s_cbranch_vccnz .LBB6_33
; %bb.32:
	v_mad_u64_u32 v[6:7], s[8:9], v8, s18, 0
	v_mov_b32_e32 v16, v7
	v_mad_u64_u32 v[16:17], s[8:9], v8, s19, v[16:17]
	v_mov_b32_e32 v7, v16
	v_lshlrev_b64 v[6:7], 3, v[6:7]
	v_add_co_u32_e32 v6, vcc, v13, v6
	v_addc_co_u32_e32 v7, vcc, v14, v7, vcc
.LBB6_33:
	global_load_dwordx2 v[6:7], v[6:7], off
	s_waitcnt vmcnt(0)
	v_cmp_neq_f64_e32 vcc, 0, v[6:7]
	v_addc_co_u32_e32 v0, vcc, 0, v0, vcc
.LBB6_34:
	s_or_b64 exec, exec, s[6:7]
	v_or_b32_e32 v15, 1, v8
	v_cmp_gt_i32_e32 vcc, s14, v15
	s_and_saveexec_b64 s[6:7], vcc
	s_cbranch_execz .LBB6_40
; %bb.35:
	s_andn2_b64 vcc, exec, s[0:1]
	s_cbranch_vccnz .LBB6_37
; %bb.36:
	v_add_co_u32_e32 v6, vcc, 8, v4
	v_addc_co_u32_e32 v7, vcc, 0, v5, vcc
	s_cbranch_execz .LBB6_38
	s_branch .LBB6_39
.LBB6_37:
                                        ; implicit-def: $vgpr6_vgpr7
.LBB6_38:
	v_mad_u64_u32 v[6:7], s[8:9], v15, s18, 0
	v_mov_b32_e32 v16, v7
	v_mad_u64_u32 v[16:17], s[8:9], v15, s19, v[16:17]
	v_mov_b32_e32 v7, v16
	v_lshlrev_b64 v[6:7], 3, v[6:7]
	v_add_co_u32_e32 v6, vcc, v13, v6
	v_addc_co_u32_e32 v7, vcc, v14, v7, vcc
.LBB6_39:
	global_load_dwordx2 v[6:7], v[6:7], off
	s_waitcnt vmcnt(0)
	v_cmp_neq_f64_e32 vcc, 0, v[6:7]
	v_addc_co_u32_e32 v0, vcc, 0, v0, vcc
.LBB6_40:
	s_or_b64 exec, exec, s[6:7]
	v_or_b32_e32 v15, 2, v8
	v_cmp_gt_i32_e32 vcc, s14, v15
	s_and_saveexec_b64 s[6:7], vcc
	s_cbranch_execz .LBB6_46
; %bb.41:
	s_andn2_b64 vcc, exec, s[0:1]
	s_cbranch_vccnz .LBB6_43
; %bb.42:
	v_add_co_u32_e32 v6, vcc, 16, v4
	v_addc_co_u32_e32 v7, vcc, 0, v5, vcc
	s_cbranch_execz .LBB6_44
	s_branch .LBB6_45
.LBB6_43:
                                        ; implicit-def: $vgpr6_vgpr7
.LBB6_44:
	v_mad_u64_u32 v[6:7], s[8:9], v15, s18, 0
	v_mov_b32_e32 v16, v7
	v_mad_u64_u32 v[16:17], s[8:9], v15, s19, v[16:17]
	v_mov_b32_e32 v7, v16
	v_lshlrev_b64 v[6:7], 3, v[6:7]
	v_add_co_u32_e32 v6, vcc, v13, v6
	v_addc_co_u32_e32 v7, vcc, v14, v7, vcc
.LBB6_45:
	global_load_dwordx2 v[6:7], v[6:7], off
	s_waitcnt vmcnt(0)
	v_cmp_neq_f64_e32 vcc, 0, v[6:7]
	v_addc_co_u32_e32 v0, vcc, 0, v0, vcc
.LBB6_46:
	s_or_b64 exec, exec, s[6:7]
	v_or_b32_e32 v6, 3, v8
	v_cmp_gt_i32_e32 vcc, s14, v6
	s_and_saveexec_b64 s[6:7], vcc
	s_cbranch_execz .LBB6_52
; %bb.47:
	s_andn2_b64 vcc, exec, s[0:1]
	s_cbranch_vccnz .LBB6_49
; %bb.48:
	v_add_co_u32_e32 v4, vcc, 24, v4
	v_addc_co_u32_e32 v5, vcc, 0, v5, vcc
	s_cbranch_execz .LBB6_50
	s_branch .LBB6_51
.LBB6_49:
                                        ; implicit-def: $vgpr4_vgpr5
.LBB6_50:
	v_mad_u64_u32 v[4:5], s[8:9], v6, s18, 0
	v_mov_b32_e32 v16, v5
	v_mad_u64_u32 v[6:7], s[8:9], v6, s19, v[16:17]
	v_mov_b32_e32 v5, v6
	v_lshlrev_b64 v[4:5], 3, v[4:5]
	v_add_co_u32_e32 v4, vcc, v13, v4
	v_addc_co_u32_e32 v5, vcc, v14, v5, vcc
.LBB6_51:
	global_load_dwordx2 v[4:5], v[4:5], off
	s_waitcnt vmcnt(0)
	v_cmp_neq_f64_e32 vcc, 0, v[4:5]
	v_addc_co_u32_e32 v0, vcc, 0, v0, vcc
.LBB6_52:
	s_or_b64 exec, exec, s[6:7]
.LBB6_53:
	s_or_b64 exec, exec, s[4:5]
	v_cmp_gt_i32_e32 vcc, s13, v28
	s_and_saveexec_b64 s[4:5], vcc
	s_cbranch_execz .LBB6_77
; %bb.54:
	v_ashrrev_i32_e32 v4, 31, v28
	v_mul_lo_u32 v6, v28, s19
	v_mul_lo_u32 v7, v4, s18
	v_mad_u64_u32 v[4:5], s[6:7], v28, s18, 0
	v_add3_u32 v5, v5, v6, v7
	v_lshlrev_b64 v[4:5], 3, v[4:5]
	v_add_co_u32_e32 v4, vcc, v9, v4
	v_addc_co_u32_e32 v5, vcc, v12, v5, vcc
	v_lshlrev_b64 v[6:7], 3, v[10:11]
	v_mov_b32_e32 v14, s17
	v_add_co_u32_e32 v13, vcc, s16, v6
	v_addc_co_u32_e32 v14, vcc, v14, v7, vcc
	v_cmp_gt_i32_e32 vcc, s14, v8
	s_and_saveexec_b64 s[6:7], vcc
	s_cbranch_execz .LBB6_58
; %bb.55:
	s_andn2_b64 vcc, exec, s[2:3]
	v_pk_mov_b32 v[6:7], v[4:5], v[4:5] op_sel:[0,1]
	s_cbranch_vccnz .LBB6_57
; %bb.56:
	v_mad_u64_u32 v[6:7], s[8:9], v8, s18, 0
	v_mov_b32_e32 v16, v7
	v_mad_u64_u32 v[16:17], s[8:9], v8, s19, v[16:17]
	v_mov_b32_e32 v7, v16
	v_lshlrev_b64 v[6:7], 3, v[6:7]
	v_add_co_u32_e32 v6, vcc, v13, v6
	v_addc_co_u32_e32 v7, vcc, v14, v7, vcc
	v_add_co_u32_e32 v6, vcc, 0x200, v6
	v_addc_co_u32_e32 v7, vcc, 0, v7, vcc
.LBB6_57:
	global_load_dwordx2 v[6:7], v[6:7], off
	s_waitcnt vmcnt(0)
	v_cmp_neq_f64_e32 vcc, 0, v[6:7]
	v_addc_co_u32_e32 v1, vcc, 0, v1, vcc
.LBB6_58:
	s_or_b64 exec, exec, s[6:7]
	v_or_b32_e32 v15, 1, v8
	v_cmp_gt_i32_e32 vcc, s14, v15
	s_and_saveexec_b64 s[6:7], vcc
	s_cbranch_execz .LBB6_64
; %bb.59:
	s_andn2_b64 vcc, exec, s[0:1]
	s_cbranch_vccnz .LBB6_61
; %bb.60:
	v_add_co_u32_e32 v6, vcc, 8, v4
	v_addc_co_u32_e32 v7, vcc, 0, v5, vcc
	s_cbranch_execz .LBB6_62
	s_branch .LBB6_63
.LBB6_61:
                                        ; implicit-def: $vgpr6_vgpr7
.LBB6_62:
	v_mad_u64_u32 v[6:7], s[8:9], v15, s18, 0
	v_mov_b32_e32 v16, v7
	v_mad_u64_u32 v[16:17], s[8:9], v15, s19, v[16:17]
	v_mov_b32_e32 v7, v16
	v_lshlrev_b64 v[6:7], 3, v[6:7]
	v_add_co_u32_e32 v6, vcc, v13, v6
	v_addc_co_u32_e32 v7, vcc, v14, v7, vcc
	v_add_co_u32_e32 v6, vcc, 0x200, v6
	v_addc_co_u32_e32 v7, vcc, 0, v7, vcc
.LBB6_63:
	global_load_dwordx2 v[6:7], v[6:7], off
	s_waitcnt vmcnt(0)
	v_cmp_neq_f64_e32 vcc, 0, v[6:7]
	v_addc_co_u32_e32 v1, vcc, 0, v1, vcc
.LBB6_64:
	s_or_b64 exec, exec, s[6:7]
	v_or_b32_e32 v15, 2, v8
	v_cmp_gt_i32_e32 vcc, s14, v15
	s_and_saveexec_b64 s[6:7], vcc
	s_cbranch_execz .LBB6_70
; %bb.65:
	s_andn2_b64 vcc, exec, s[0:1]
	s_cbranch_vccnz .LBB6_67
; %bb.66:
	v_add_co_u32_e32 v6, vcc, 16, v4
	v_addc_co_u32_e32 v7, vcc, 0, v5, vcc
	s_cbranch_execz .LBB6_68
	s_branch .LBB6_69
.LBB6_67:
                                        ; implicit-def: $vgpr6_vgpr7
.LBB6_68:
	v_mad_u64_u32 v[6:7], s[8:9], v15, s18, 0
	v_mov_b32_e32 v16, v7
	v_mad_u64_u32 v[16:17], s[8:9], v15, s19, v[16:17]
	v_mov_b32_e32 v7, v16
	v_lshlrev_b64 v[6:7], 3, v[6:7]
	v_add_co_u32_e32 v6, vcc, v13, v6
	v_addc_co_u32_e32 v7, vcc, v14, v7, vcc
	v_add_co_u32_e32 v6, vcc, 0x200, v6
	v_addc_co_u32_e32 v7, vcc, 0, v7, vcc
.LBB6_69:
	global_load_dwordx2 v[6:7], v[6:7], off
	s_waitcnt vmcnt(0)
	v_cmp_neq_f64_e32 vcc, 0, v[6:7]
	v_addc_co_u32_e32 v1, vcc, 0, v1, vcc
.LBB6_70:
	s_or_b64 exec, exec, s[6:7]
	v_or_b32_e32 v6, 3, v8
	v_cmp_gt_i32_e32 vcc, s14, v6
	s_and_saveexec_b64 s[6:7], vcc
	s_cbranch_execz .LBB6_76
; %bb.71:
	s_andn2_b64 vcc, exec, s[0:1]
	s_cbranch_vccnz .LBB6_73
; %bb.72:
	v_add_co_u32_e32 v4, vcc, 24, v4
	v_addc_co_u32_e32 v5, vcc, 0, v5, vcc
	s_cbranch_execz .LBB6_74
	s_branch .LBB6_75
.LBB6_73:
                                        ; implicit-def: $vgpr4_vgpr5
.LBB6_74:
	v_mad_u64_u32 v[4:5], s[8:9], v6, s18, 0
	v_mov_b32_e32 v16, v5
	v_mad_u64_u32 v[6:7], s[8:9], v6, s19, v[16:17]
	v_mov_b32_e32 v5, v6
	v_lshlrev_b64 v[4:5], 3, v[4:5]
	v_add_co_u32_e32 v4, vcc, v13, v4
	v_addc_co_u32_e32 v5, vcc, v14, v5, vcc
	v_add_co_u32_e32 v4, vcc, 0x200, v4
	v_addc_co_u32_e32 v5, vcc, 0, v5, vcc
.LBB6_75:
	global_load_dwordx2 v[4:5], v[4:5], off
	s_waitcnt vmcnt(0)
	v_cmp_neq_f64_e32 vcc, 0, v[4:5]
	v_addc_co_u32_e32 v1, vcc, 0, v1, vcc
.LBB6_76:
	s_or_b64 exec, exec, s[6:7]
.LBB6_77:
	s_or_b64 exec, exec, s[4:5]
	v_or_b32_e32 v4, 0x80, v10
	v_cmp_gt_i32_e32 vcc, s13, v4
	s_and_saveexec_b64 s[4:5], vcc
	s_cbranch_execz .LBB6_101
; %bb.78:
	v_ashrrev_i32_e32 v5, 31, v4
	v_mul_lo_u32 v6, v4, s19
	v_mul_lo_u32 v7, v5, s18
	v_mad_u64_u32 v[4:5], s[6:7], v4, s18, 0
	v_add3_u32 v5, v5, v6, v7
	v_lshlrev_b64 v[4:5], 3, v[4:5]
	v_add_co_u32_e32 v4, vcc, v9, v4
	v_addc_co_u32_e32 v5, vcc, v12, v5, vcc
	v_lshlrev_b64 v[6:7], 3, v[10:11]
	v_mov_b32_e32 v14, s17
	v_add_co_u32_e32 v13, vcc, s16, v6
	v_addc_co_u32_e32 v14, vcc, v14, v7, vcc
	v_cmp_gt_i32_e32 vcc, s14, v8
	s_and_saveexec_b64 s[6:7], vcc
	s_cbranch_execz .LBB6_82
; %bb.79:
	s_andn2_b64 vcc, exec, s[2:3]
	v_pk_mov_b32 v[6:7], v[4:5], v[4:5] op_sel:[0,1]
	s_cbranch_vccnz .LBB6_81
; %bb.80:
	v_mad_u64_u32 v[6:7], s[8:9], v8, s18, 0
	v_mov_b32_e32 v16, v7
	v_mad_u64_u32 v[16:17], s[8:9], v8, s19, v[16:17]
	v_mov_b32_e32 v7, v16
	v_lshlrev_b64 v[6:7], 3, v[6:7]
	v_add_co_u32_e32 v6, vcc, v13, v6
	v_addc_co_u32_e32 v7, vcc, v14, v7, vcc
	v_add_co_u32_e32 v6, vcc, 0x400, v6
	v_addc_co_u32_e32 v7, vcc, 0, v7, vcc
.LBB6_81:
	global_load_dwordx2 v[6:7], v[6:7], off
	s_waitcnt vmcnt(0)
	v_cmp_neq_f64_e32 vcc, 0, v[6:7]
	v_addc_co_u32_e32 v2, vcc, 0, v2, vcc
.LBB6_82:
	s_or_b64 exec, exec, s[6:7]
	v_or_b32_e32 v15, 1, v8
	v_cmp_gt_i32_e32 vcc, s14, v15
	s_and_saveexec_b64 s[6:7], vcc
	s_cbranch_execz .LBB6_88
; %bb.83:
	s_andn2_b64 vcc, exec, s[0:1]
	s_cbranch_vccnz .LBB6_85
; %bb.84:
	v_add_co_u32_e32 v6, vcc, 8, v4
	v_addc_co_u32_e32 v7, vcc, 0, v5, vcc
	s_cbranch_execz .LBB6_86
	s_branch .LBB6_87
.LBB6_85:
                                        ; implicit-def: $vgpr6_vgpr7
.LBB6_86:
	v_mad_u64_u32 v[6:7], s[8:9], v15, s18, 0
	v_mov_b32_e32 v16, v7
	v_mad_u64_u32 v[16:17], s[8:9], v15, s19, v[16:17]
	v_mov_b32_e32 v7, v16
	v_lshlrev_b64 v[6:7], 3, v[6:7]
	v_add_co_u32_e32 v6, vcc, v13, v6
	v_addc_co_u32_e32 v7, vcc, v14, v7, vcc
	v_add_co_u32_e32 v6, vcc, 0x400, v6
	v_addc_co_u32_e32 v7, vcc, 0, v7, vcc
.LBB6_87:
	global_load_dwordx2 v[6:7], v[6:7], off
	s_waitcnt vmcnt(0)
	v_cmp_neq_f64_e32 vcc, 0, v[6:7]
	v_addc_co_u32_e32 v2, vcc, 0, v2, vcc
.LBB6_88:
	s_or_b64 exec, exec, s[6:7]
	v_or_b32_e32 v15, 2, v8
	v_cmp_gt_i32_e32 vcc, s14, v15
	s_and_saveexec_b64 s[6:7], vcc
	s_cbranch_execz .LBB6_94
; %bb.89:
	s_andn2_b64 vcc, exec, s[0:1]
	s_cbranch_vccnz .LBB6_91
; %bb.90:
	v_add_co_u32_e32 v6, vcc, 16, v4
	v_addc_co_u32_e32 v7, vcc, 0, v5, vcc
	s_cbranch_execz .LBB6_92
	s_branch .LBB6_93
.LBB6_91:
                                        ; implicit-def: $vgpr6_vgpr7
.LBB6_92:
	v_mad_u64_u32 v[6:7], s[8:9], v15, s18, 0
	v_mov_b32_e32 v16, v7
	v_mad_u64_u32 v[16:17], s[8:9], v15, s19, v[16:17]
	v_mov_b32_e32 v7, v16
	v_lshlrev_b64 v[6:7], 3, v[6:7]
	v_add_co_u32_e32 v6, vcc, v13, v6
	v_addc_co_u32_e32 v7, vcc, v14, v7, vcc
	v_add_co_u32_e32 v6, vcc, 0x400, v6
	v_addc_co_u32_e32 v7, vcc, 0, v7, vcc
.LBB6_93:
	global_load_dwordx2 v[6:7], v[6:7], off
	s_waitcnt vmcnt(0)
	v_cmp_neq_f64_e32 vcc, 0, v[6:7]
	v_addc_co_u32_e32 v2, vcc, 0, v2, vcc
.LBB6_94:
	s_or_b64 exec, exec, s[6:7]
	v_or_b32_e32 v6, 3, v8
	v_cmp_gt_i32_e32 vcc, s14, v6
	s_and_saveexec_b64 s[6:7], vcc
	s_cbranch_execz .LBB6_100
; %bb.95:
	s_andn2_b64 vcc, exec, s[0:1]
	s_cbranch_vccnz .LBB6_97
; %bb.96:
	v_add_co_u32_e32 v4, vcc, 24, v4
	v_addc_co_u32_e32 v5, vcc, 0, v5, vcc
	s_cbranch_execz .LBB6_98
	s_branch .LBB6_99
.LBB6_97:
                                        ; implicit-def: $vgpr4_vgpr5
.LBB6_98:
	v_mad_u64_u32 v[4:5], s[8:9], v6, s18, 0
	v_mov_b32_e32 v16, v5
	v_mad_u64_u32 v[6:7], s[8:9], v6, s19, v[16:17]
	v_mov_b32_e32 v5, v6
	v_lshlrev_b64 v[4:5], 3, v[4:5]
	v_add_co_u32_e32 v4, vcc, v13, v4
	v_addc_co_u32_e32 v5, vcc, v14, v5, vcc
	v_add_co_u32_e32 v4, vcc, 0x400, v4
	v_addc_co_u32_e32 v5, vcc, 0, v5, vcc
.LBB6_99:
	global_load_dwordx2 v[4:5], v[4:5], off
	s_waitcnt vmcnt(0)
	v_cmp_neq_f64_e32 vcc, 0, v[4:5]
	v_addc_co_u32_e32 v2, vcc, 0, v2, vcc
.LBB6_100:
	s_or_b64 exec, exec, s[6:7]
.LBB6_101:
	s_or_b64 exec, exec, s[4:5]
	v_or_b32_e32 v4, 0xc0, v10
	v_cmp_gt_i32_e32 vcc, s13, v4
	s_and_saveexec_b64 s[4:5], vcc
	s_cbranch_execz .LBB6_125
; %bb.102:
	v_ashrrev_i32_e32 v5, 31, v4
	v_mul_lo_u32 v6, v4, s19
	v_mul_lo_u32 v7, v5, s18
	v_mad_u64_u32 v[4:5], s[6:7], v4, s18, 0
	v_add3_u32 v5, v5, v6, v7
	v_lshlrev_b64 v[4:5], 3, v[4:5]
	v_add_co_u32_e32 v4, vcc, v9, v4
	v_addc_co_u32_e32 v5, vcc, v12, v5, vcc
	v_lshlrev_b64 v[6:7], 3, v[10:11]
	v_mov_b32_e32 v10, s17
	v_add_co_u32_e32 v9, vcc, s16, v6
	v_addc_co_u32_e32 v10, vcc, v10, v7, vcc
	v_cmp_gt_i32_e32 vcc, s14, v8
	s_and_saveexec_b64 s[6:7], vcc
	s_cbranch_execz .LBB6_106
; %bb.103:
	s_andn2_b64 vcc, exec, s[2:3]
	v_pk_mov_b32 v[6:7], v[4:5], v[4:5] op_sel:[0,1]
	s_cbranch_vccnz .LBB6_105
; %bb.104:
	v_mad_u64_u32 v[6:7], s[2:3], v8, s18, 0
	v_mov_b32_e32 v12, v7
	v_mad_u64_u32 v[12:13], s[2:3], v8, s19, v[12:13]
	v_mov_b32_e32 v7, v12
	v_lshlrev_b64 v[6:7], 3, v[6:7]
	v_add_co_u32_e32 v6, vcc, v9, v6
	v_addc_co_u32_e32 v7, vcc, v10, v7, vcc
	v_add_co_u32_e32 v6, vcc, 0x600, v6
	v_addc_co_u32_e32 v7, vcc, 0, v7, vcc
.LBB6_105:
	global_load_dwordx2 v[6:7], v[6:7], off
	s_waitcnt vmcnt(0)
	v_cmp_neq_f64_e32 vcc, 0, v[6:7]
	v_addc_co_u32_e32 v3, vcc, 0, v3, vcc
.LBB6_106:
	s_or_b64 exec, exec, s[6:7]
	v_or_b32_e32 v11, 1, v8
	v_cndmask_b32_e64 v6, 0, 1, s[0:1]
	v_cmp_gt_i32_e32 vcc, s14, v11
	v_cmp_ne_u32_e64 s[0:1], 1, v6
	s_and_saveexec_b64 s[2:3], vcc
	s_cbranch_execz .LBB6_112
; %bb.107:
	s_and_b64 vcc, exec, s[0:1]
	s_cbranch_vccnz .LBB6_109
; %bb.108:
	v_add_co_u32_e32 v6, vcc, 8, v4
	v_addc_co_u32_e32 v7, vcc, 0, v5, vcc
	s_cbranch_execz .LBB6_110
	s_branch .LBB6_111
.LBB6_109:
                                        ; implicit-def: $vgpr6_vgpr7
.LBB6_110:
	v_mad_u64_u32 v[6:7], s[6:7], v11, s18, 0
	v_mov_b32_e32 v12, v7
	v_mad_u64_u32 v[12:13], s[6:7], v11, s19, v[12:13]
	v_mov_b32_e32 v7, v12
	v_lshlrev_b64 v[6:7], 3, v[6:7]
	v_add_co_u32_e32 v6, vcc, v9, v6
	v_addc_co_u32_e32 v7, vcc, v10, v7, vcc
	v_add_co_u32_e32 v6, vcc, 0x600, v6
	v_addc_co_u32_e32 v7, vcc, 0, v7, vcc
.LBB6_111:
	global_load_dwordx2 v[6:7], v[6:7], off
	s_waitcnt vmcnt(0)
	v_cmp_neq_f64_e32 vcc, 0, v[6:7]
	v_addc_co_u32_e32 v3, vcc, 0, v3, vcc
.LBB6_112:
	s_or_b64 exec, exec, s[2:3]
	v_or_b32_e32 v11, 2, v8
	v_cmp_gt_i32_e32 vcc, s14, v11
	s_and_saveexec_b64 s[2:3], vcc
	s_cbranch_execz .LBB6_118
; %bb.113:
	s_and_b64 vcc, exec, s[0:1]
	s_cbranch_vccnz .LBB6_115
; %bb.114:
	v_add_co_u32_e32 v6, vcc, 16, v4
	v_addc_co_u32_e32 v7, vcc, 0, v5, vcc
	s_cbranch_execz .LBB6_116
	s_branch .LBB6_117
.LBB6_115:
                                        ; implicit-def: $vgpr6_vgpr7
.LBB6_116:
	v_mad_u64_u32 v[6:7], s[6:7], v11, s18, 0
	v_mov_b32_e32 v12, v7
	v_mad_u64_u32 v[12:13], s[6:7], v11, s19, v[12:13]
	v_mov_b32_e32 v7, v12
	v_lshlrev_b64 v[6:7], 3, v[6:7]
	v_add_co_u32_e32 v6, vcc, v9, v6
	v_addc_co_u32_e32 v7, vcc, v10, v7, vcc
	v_add_co_u32_e32 v6, vcc, 0x600, v6
	v_addc_co_u32_e32 v7, vcc, 0, v7, vcc
.LBB6_117:
	global_load_dwordx2 v[6:7], v[6:7], off
	s_waitcnt vmcnt(0)
	v_cmp_neq_f64_e32 vcc, 0, v[6:7]
	v_addc_co_u32_e32 v3, vcc, 0, v3, vcc
.LBB6_118:
	s_or_b64 exec, exec, s[2:3]
	v_or_b32_e32 v6, 3, v8
	v_cmp_gt_i32_e32 vcc, s14, v6
	s_and_saveexec_b64 s[2:3], vcc
	s_cbranch_execz .LBB6_124
; %bb.119:
	s_and_b64 vcc, exec, s[0:1]
	s_cbranch_vccnz .LBB6_121
; %bb.120:
	v_add_co_u32_e32 v4, vcc, 24, v4
	v_addc_co_u32_e32 v5, vcc, 0, v5, vcc
	s_cbranch_execz .LBB6_122
	s_branch .LBB6_123
.LBB6_121:
                                        ; implicit-def: $vgpr4_vgpr5
.LBB6_122:
	v_mad_u64_u32 v[4:5], s[0:1], v6, s18, 0
	v_mov_b32_e32 v8, v5
	v_mad_u64_u32 v[6:7], s[0:1], v6, s19, v[8:9]
	v_mov_b32_e32 v5, v6
	v_lshlrev_b64 v[4:5], 3, v[4:5]
	v_add_co_u32_e32 v4, vcc, v9, v4
	v_addc_co_u32_e32 v5, vcc, v10, v5, vcc
	v_add_co_u32_e32 v4, vcc, 0x600, v4
	v_addc_co_u32_e32 v5, vcc, 0, v5, vcc
.LBB6_123:
	global_load_dwordx2 v[4:5], v[4:5], off
	s_waitcnt vmcnt(0)
	v_cmp_neq_f64_e32 vcc, 0, v[4:5]
	v_addc_co_u32_e32 v3, vcc, 0, v3, vcc
.LBB6_124:
	s_or_b64 exec, exec, s[2:3]
.LBB6_125:
	s_or_b64 exec, exec, s[4:5]
.LBB6_126:
	v_lshlrev_b32_e32 v4, 2, v25
	s_mov_b32 s0, 0x1fffff00
	v_and_or_b32 v5, v4, s0, v27
	s_movk_i32 s0, 0x100
	v_lshlrev_b32_e32 v5, 2, v5
	v_cmp_gt_u32_e32 vcc, s0, v25
	ds_write2st64_b32 v5, v0, v1 offset1:1
	ds_write2st64_b32 v5, v2, v3 offset0:2 offset1:3
	s_waitcnt lgkmcnt(0)
	s_barrier
	s_and_saveexec_b64 s[0:1], vcc
	s_cbranch_execz .LBB6_129
; %bb.127:
	ds_read2st64_b32 v[2:3], v4 offset1:4
	ds_read2st64_b32 v[6:7], v4 offset0:8 offset1:12
	ds_read2st64_b32 v[8:9], v4 offset0:16 offset1:20
	;; [unrolled: 1-line block ×3, first 2 shown]
	v_add_u32_e32 v0, s15, v25
	s_waitcnt lgkmcnt(3)
	v_add_u32_e32 v1, v2, v3
	s_waitcnt lgkmcnt(2)
	v_add3_u32 v1, v1, v6, v7
	s_waitcnt lgkmcnt(1)
	v_add3_u32 v1, v1, v8, v9
	ds_read2st64_b32 v[2:3], v4 offset0:32 offset1:36
	ds_read2st64_b32 v[6:7], v4 offset0:40 offset1:44
	;; [unrolled: 1-line block ×4, first 2 shown]
	s_waitcnt lgkmcnt(4)
	v_add3_u32 v1, v1, v10, v11
	s_waitcnt lgkmcnt(3)
	v_add3_u32 v1, v1, v2, v3
	;; [unrolled: 2-line block ×5, first 2 shown]
	v_cmp_gt_i32_e32 vcc, s13, v0
	ds_write_b32 v4, v2
	s_and_b64 exec, exec, vcc
	s_cbranch_execz .LBB6_129
; %bb.128:
	v_ashrrev_i32_e32 v1, 31, v0
	v_lshlrev_b64 v[0:1], 2, v[0:1]
	v_mov_b32_e32 v3, s21
	v_add_co_u32_e32 v0, vcc, s20, v0
	v_addc_co_u32_e32 v1, vcc, v3, v1, vcc
	global_store_dword v[0:1], v2, off
.LBB6_129:
	s_endpgm
	.section	.rodata,"a",@progbits
	.p2align	6, 0x0
	.amdhsa_kernel _ZN9rocsparseL14nnz_kernel_rowILi64ELi16EiidEEv16rocsparse_order_T2_S2_PKT3_lPT1_
		.amdhsa_group_segment_fixed_size 16384
		.amdhsa_private_segment_fixed_size 0
		.amdhsa_kernarg_size 296
		.amdhsa_user_sgpr_count 6
		.amdhsa_user_sgpr_private_segment_buffer 1
		.amdhsa_user_sgpr_dispatch_ptr 0
		.amdhsa_user_sgpr_queue_ptr 0
		.amdhsa_user_sgpr_kernarg_segment_ptr 1
		.amdhsa_user_sgpr_dispatch_id 0
		.amdhsa_user_sgpr_flat_scratch_init 0
		.amdhsa_user_sgpr_kernarg_preload_length 0
		.amdhsa_user_sgpr_kernarg_preload_offset 0
		.amdhsa_user_sgpr_private_segment_size 0
		.amdhsa_uses_dynamic_stack 0
		.amdhsa_system_sgpr_private_segment_wavefront_offset 0
		.amdhsa_system_sgpr_workgroup_id_x 1
		.amdhsa_system_sgpr_workgroup_id_y 0
		.amdhsa_system_sgpr_workgroup_id_z 0
		.amdhsa_system_sgpr_workgroup_info 0
		.amdhsa_system_vgpr_workitem_id 1
		.amdhsa_next_free_vgpr 38
		.amdhsa_next_free_sgpr 34
		.amdhsa_accum_offset 40
		.amdhsa_reserve_vcc 1
		.amdhsa_reserve_flat_scratch 0
		.amdhsa_float_round_mode_32 0
		.amdhsa_float_round_mode_16_64 0
		.amdhsa_float_denorm_mode_32 3
		.amdhsa_float_denorm_mode_16_64 3
		.amdhsa_dx10_clamp 1
		.amdhsa_ieee_mode 1
		.amdhsa_fp16_overflow 0
		.amdhsa_tg_split 0
		.amdhsa_exception_fp_ieee_invalid_op 0
		.amdhsa_exception_fp_denorm_src 0
		.amdhsa_exception_fp_ieee_div_zero 0
		.amdhsa_exception_fp_ieee_overflow 0
		.amdhsa_exception_fp_ieee_underflow 0
		.amdhsa_exception_fp_ieee_inexact 0
		.amdhsa_exception_int_div_zero 0
	.end_amdhsa_kernel
	.section	.text._ZN9rocsparseL14nnz_kernel_rowILi64ELi16EiidEEv16rocsparse_order_T2_S2_PKT3_lPT1_,"axG",@progbits,_ZN9rocsparseL14nnz_kernel_rowILi64ELi16EiidEEv16rocsparse_order_T2_S2_PKT3_lPT1_,comdat
.Lfunc_end6:
	.size	_ZN9rocsparseL14nnz_kernel_rowILi64ELi16EiidEEv16rocsparse_order_T2_S2_PKT3_lPT1_, .Lfunc_end6-_ZN9rocsparseL14nnz_kernel_rowILi64ELi16EiidEEv16rocsparse_order_T2_S2_PKT3_lPT1_
                                        ; -- End function
	.section	.AMDGPU.csdata,"",@progbits
; Kernel info:
; codeLenInByte = 4444
; NumSgprs: 38
; NumVgprs: 38
; NumAgprs: 0
; TotalNumVgprs: 38
; ScratchSize: 0
; MemoryBound: 0
; FloatMode: 240
; IeeeMode: 1
; LDSByteSize: 16384 bytes/workgroup (compile time only)
; SGPRBlocks: 4
; VGPRBlocks: 4
; NumSGPRsForWavesPerEU: 38
; NumVGPRsForWavesPerEU: 38
; AccumOffset: 40
; Occupancy: 8
; WaveLimiterHint : 0
; COMPUTE_PGM_RSRC2:SCRATCH_EN: 0
; COMPUTE_PGM_RSRC2:USER_SGPR: 6
; COMPUTE_PGM_RSRC2:TRAP_HANDLER: 0
; COMPUTE_PGM_RSRC2:TGID_X_EN: 1
; COMPUTE_PGM_RSRC2:TGID_Y_EN: 0
; COMPUTE_PGM_RSRC2:TGID_Z_EN: 0
; COMPUTE_PGM_RSRC2:TIDIG_COMP_CNT: 1
; COMPUTE_PGM_RSRC3_GFX90A:ACCUM_OFFSET: 9
; COMPUTE_PGM_RSRC3_GFX90A:TG_SPLIT: 0
	.section	.text._ZN9rocsparseL14nnz_kernel_colILi256EiidEEv16rocsparse_order_T1_S2_PKT2_lPT0_,"axG",@progbits,_ZN9rocsparseL14nnz_kernel_colILi256EiidEEv16rocsparse_order_T1_S2_PKT2_lPT0_,comdat
	.globl	_ZN9rocsparseL14nnz_kernel_colILi256EiidEEv16rocsparse_order_T1_S2_PKT2_lPT0_ ; -- Begin function _ZN9rocsparseL14nnz_kernel_colILi256EiidEEv16rocsparse_order_T1_S2_PKT2_lPT0_
	.p2align	8
	.type	_ZN9rocsparseL14nnz_kernel_colILi256EiidEEv16rocsparse_order_T1_S2_PKT2_lPT0_,@function
_ZN9rocsparseL14nnz_kernel_colILi256EiidEEv16rocsparse_order_T1_S2_PKT2_lPT0_: ; @_ZN9rocsparseL14nnz_kernel_colILi256EiidEEv16rocsparse_order_T1_S2_PKT2_lPT0_
; %bb.0:
	s_load_dwordx2 s[8:9], s[4:5], 0x0
	s_load_dwordx4 s[0:3], s[4:5], 0x10
	s_waitcnt lgkmcnt(0)
	s_ashr_i32 s7, s9, 31
	s_lshr_b32 s7, s7, 24
	s_add_i32 s7, s9, s7
	s_and_b32 s10, s7, 0xffffff00
	s_cmp_eq_u32 s8, 1
	s_cbranch_scc1 .LBB7_6
; %bb.1:
	s_cmpk_lt_i32 s9, 0x100
	v_mov_b32_e32 v1, 0
	s_cbranch_scc1 .LBB7_7
; %bb.2:
	v_mad_u64_u32 v[2:3], s[12:13], s2, v0, 0
	v_mov_b32_e32 v4, v3
	s_ashr_i32 s7, s6, 31
	v_mad_u64_u32 v[4:5], s[12:13], s3, v0, v[4:5]
	s_lshl_b64 s[12:13], s[6:7], 3
	v_mov_b32_e32 v3, v4
	s_add_u32 s7, s0, s12
	v_lshlrev_b64 v[2:3], 3, v[2:3]
	s_addc_u32 s8, s1, s13
	v_mov_b32_e32 v1, s8
	v_add_co_u32_e32 v2, vcc, s7, v2
	s_lshl_b64 s[12:13], s[2:3], 11
	v_addc_co_u32_e32 v3, vcc, v1, v3, vcc
	s_mov_b32 s7, 0
	v_mov_b32_e32 v1, 0
	v_mov_b32_e32 v4, s13
	s_branch .LBB7_4
.LBB7_3:                                ;   in Loop: Header=BB7_4 Depth=1
	s_or_b64 exec, exec, s[14:15]
	s_addk_i32 s7, 0x100
	v_add_co_u32_e32 v2, vcc, s12, v2
	s_cmp_ge_i32 s7, s10
	v_addc_co_u32_e32 v3, vcc, v3, v4, vcc
	s_cbranch_scc1 .LBB7_7
.LBB7_4:                                ; =>This Inner Loop Header: Depth=1
	v_add_u32_e32 v5, s7, v0
	v_cmp_gt_i32_e32 vcc, s9, v5
	s_and_saveexec_b64 s[14:15], vcc
	s_cbranch_execz .LBB7_3
; %bb.5:                                ;   in Loop: Header=BB7_4 Depth=1
	global_load_dwordx2 v[6:7], v[2:3], off
	s_waitcnt vmcnt(0)
	v_cmp_neq_f64_e32 vcc, 0, v[6:7]
	v_addc_co_u32_e32 v1, vcc, 0, v1, vcc
	s_branch .LBB7_3
.LBB7_6:
	s_mov_b64 s[12:13], 0
                                        ; implicit-def: $vgpr1
                                        ; implicit-def: $vgpr2_vgpr3
	s_cbranch_execnz .LBB7_10
	s_branch .LBB7_16
.LBB7_7:
	v_add_u32_e32 v4, s10, v0
	v_cmp_gt_i32_e32 vcc, s9, v4
	s_mov_b64 s[14:15], 0
	s_mov_b64 s[12:13], 0
                                        ; implicit-def: $vgpr2_vgpr3
	s_and_saveexec_b64 s[16:17], vcc
	s_xor_b64 s[16:17], exec, s[16:17]
	s_cbranch_execz .LBB7_9
; %bb.8:
	v_ashrrev_i32_e32 v2, 31, v4
	s_ashr_i32 s7, s6, 31
	v_mul_lo_u32 v6, v2, s2
	v_mad_u64_u32 v[2:3], s[18:19], v4, s2, 0
	v_mul_lo_u32 v5, v4, s3
	s_lshl_b64 s[18:19], s[6:7], 3
	v_add3_u32 v3, v3, v5, v6
	s_add_u32 s7, s18, s0
	v_lshlrev_b64 v[2:3], 3, v[2:3]
	s_addc_u32 s8, s19, s1
	v_mov_b32_e32 v4, s8
	v_add_co_u32_e32 v2, vcc, s7, v2
	s_mov_b64 s[12:13], exec
	v_addc_co_u32_e32 v3, vcc, v4, v3, vcc
.LBB7_9:
	s_or_b64 exec, exec, s[16:17]
	s_and_b64 vcc, exec, s[14:15]
	s_cbranch_vccz .LBB7_16
.LBB7_10:
	s_ashr_i32 s7, s6, 31
	s_mul_i32 s3, s6, s3
	s_mul_hi_u32 s8, s6, s2
	s_add_i32 s3, s8, s3
	s_mul_i32 s7, s7, s2
	s_add_i32 s15, s3, s7
	s_mul_i32 s14, s6, s2
	v_cmp_gt_i32_e32 vcc, s9, v0
	s_lshl_b64 s[14:15], s[14:15], 3
	v_cndmask_b32_e32 v2, 0, v0, vcc
	s_add_u32 s0, s0, s14
	s_addc_u32 s1, s1, s15
	v_lshlrev_b32_e32 v2, 3, v2
	v_mov_b32_e32 v3, s1
	v_add_co_u32_e32 v4, vcc, s0, v2
	s_mov_b32 s2, 0
	v_mov_b32_e32 v1, 0
	s_cmpk_lt_i32 s9, 0x100
	v_addc_co_u32_e32 v5, vcc, 0, v3, vcc
	s_cbranch_scc1 .LBB7_13
; %bb.11:
	v_mov_b32_e32 v1, 0
	v_pk_mov_b32 v[2:3], v[4:5], v[4:5] op_sel:[0,1]
.LBB7_12:                               ; =>This Inner Loop Header: Depth=1
	global_load_dwordx2 v[6:7], v[2:3], off
	v_add_co_u32_e32 v2, vcc, 0x800, v2
	v_addc_co_u32_e32 v3, vcc, 0, v3, vcc
	s_addk_i32 s2, 0x100
	s_cmp_ge_i32 s2, s10
	s_waitcnt vmcnt(0)
	v_cmp_neq_f64_e32 vcc, 0, v[6:7]
	v_addc_co_u32_e32 v1, vcc, 0, v1, vcc
	s_cbranch_scc0 .LBB7_12
.LBB7_13:
	v_add_u32_e32 v2, s10, v0
	v_cmp_gt_i32_e32 vcc, s9, v2
                                        ; implicit-def: $vgpr2_vgpr3
	s_and_saveexec_b64 s[0:1], vcc
; %bb.14:
	s_ashr_i32 s11, s10, 31
	s_lshl_b64 s[2:3], s[10:11], 3
	v_mov_b32_e32 v3, s3
	v_add_co_u32_e32 v2, vcc, s2, v4
	v_addc_co_u32_e32 v3, vcc, v5, v3, vcc
	s_or_b64 s[12:13], s[12:13], exec
; %bb.15:
	s_or_b64 exec, exec, s[0:1]
.LBB7_16:
	s_and_saveexec_b64 s[0:1], s[12:13]
	s_cbranch_execz .LBB7_18
; %bb.17:
	global_load_dwordx2 v[2:3], v[2:3], off
	s_waitcnt vmcnt(0)
	v_cmp_neq_f64_e32 vcc, 0, v[2:3]
	v_addc_co_u32_e32 v1, vcc, 0, v1, vcc
.LBB7_18:
	s_or_b64 exec, exec, s[0:1]
	v_lshlrev_b32_e32 v3, 2, v0
	s_cmpk_lt_i32 s9, 0x100
	s_mov_b64 s[0:1], -1
	v_cmp_eq_u32_e32 vcc, 0, v0
	ds_write_b32 v3, v1
	s_waitcnt lgkmcnt(0)
	s_cbranch_scc1 .LBB7_22
; %bb.19:
	s_and_b64 vcc, exec, s[0:1]
	s_cbranch_vccnz .LBB7_37
.LBB7_20:
	v_cmp_eq_u32_e32 vcc, 0, v0
	s_and_saveexec_b64 s[0:1], vcc
	s_cbranch_execnz .LBB7_54
.LBB7_21:
	s_endpgm
.LBB7_22:
	s_cmp_gt_i32 s9, 1
	s_cselect_b64 s[0:1], -1, 0
	s_mov_b32 s7, 1
	s_and_b64 s[2:3], vcc, s[0:1]
	s_barrier
	s_and_saveexec_b64 s[0:1], s[2:3]
	s_cbranch_execz .LBB7_36
; %bb.23:
	v_mov_b32_e32 v1, 0
	ds_read_b32 v2, v1
	s_cmp_lt_u32 s9, 5
	s_cbranch_scc1 .LBB7_28
; %bb.24:
	s_add_i32 s8, s9, -5
	s_lshr_b32 s7, s8, 2
	s_add_i32 s7, s7, 1
	s_mov_b32 s2, 0
	s_cmp_lt_u32 s8, 28
	s_cbranch_scc1 .LBB7_29
; %bb.25:
	s_and_b32 s3, s7, 0x7ffffff8
	s_mov_b32 s8, 4
	v_mov_b32_e32 v1, 0
	v_mov_b32_e32 v4, 0
	;; [unrolled: 1-line block ×3, first 2 shown]
.LBB7_26:                               ; =>This Inner Loop Header: Depth=1
	v_mov_b32_e32 v36, s8
	ds_read2_b32 v[6:7], v36 offset1:1
	ds_read2_b32 v[8:9], v36 offset0:2 offset1:3
	ds_read2_b32 v[10:11], v36 offset0:4 offset1:5
	;; [unrolled: 1-line block ×15, first 2 shown]
	s_waitcnt lgkmcnt(14)
	v_add_u32_e32 v2, v2, v6
	v_add_u32_e32 v1, v1, v7
	;; [unrolled: 1-line block ×4, first 2 shown]
	s_waitcnt lgkmcnt(13)
	v_add_u32_e32 v1, v1, v11
	v_add_u32_e32 v2, v2, v10
	s_waitcnt lgkmcnt(12)
	v_add_u32_e32 v5, v5, v13
	v_add_u32_e32 v4, v4, v12
	;; [unrolled: 3-line block ×10, first 2 shown]
	s_add_i32 s2, s2, 32
	s_addk_i32 s8, 0x80
	s_add_i32 s3, s3, -8
	s_waitcnt lgkmcnt(3)
	v_add_u32_e32 v2, v2, v30
	v_add_u32_e32 v1, v1, v31
	s_waitcnt lgkmcnt(2)
	v_add_u32_e32 v4, v4, v32
	v_add_u32_e32 v5, v5, v33
	s_cmp_lg_u32 s3, 0
	s_waitcnt lgkmcnt(1)
	v_add_u32_e32 v1, v1, v35
	v_add_u32_e32 v2, v2, v34
	s_waitcnt lgkmcnt(0)
	v_add_u32_e32 v5, v5, v37
	v_add_u32_e32 v4, v4, v36
	s_cbranch_scc1 .LBB7_26
; %bb.27:
	s_and_b32 s3, s7, 7
	s_cmp_eq_u32 s3, 0
	s_cbranch_scc0 .LBB7_30
	s_branch .LBB7_32
.LBB7_28:
	s_cbranch_execnz .LBB7_33
	s_branch .LBB7_35
.LBB7_29:
	s_mov_b32 s3, s2
	v_pk_mov_b32 v[4:5], s[2:3], s[2:3] op_sel:[0,1]
	s_and_b32 s3, s7, 7
	s_cmp_eq_u32 s3, 0
	s_cbranch_scc1 .LBB7_32
.LBB7_30:
	s_lshl_b32 s2, s2, 2
	s_add_i32 s2, s2, 4
.LBB7_31:                               ; =>This Inner Loop Header: Depth=1
	v_mov_b32_e32 v8, s2
	ds_read2_b32 v[6:7], v8 offset1:1
	ds_read2_b32 v[8:9], v8 offset0:2 offset1:3
	s_add_i32 s2, s2, 16
	s_add_i32 s3, s3, -1
	s_cmp_lg_u32 s3, 0
	s_waitcnt lgkmcnt(1)
	v_add_u32_e32 v1, v1, v7
	v_add_u32_e32 v2, v2, v6
	s_waitcnt lgkmcnt(0)
	v_add_u32_e32 v5, v5, v9
	v_add_u32_e32 v4, v4, v8
	s_cbranch_scc1 .LBB7_31
.LBB7_32:
	s_add_i32 s2, s9, -1
	s_and_b32 s3, s2, -4
	s_or_b32 s7, s3, 1
	v_add_u32_e32 v1, v5, v1
	s_waitcnt lgkmcnt(0)
	v_add_u32_e32 v2, v4, v2
	s_cmp_lg_u32 s2, s3
	v_add_u32_e32 v2, v2, v1
	s_cselect_b64 s[2:3], -1, 0
	s_and_b64 vcc, exec, s[2:3]
	s_cbranch_vccz .LBB7_35
.LBB7_33:
	s_sub_i32 s2, s9, s7
	s_lshl_b32 s3, s7, 2
.LBB7_34:                               ; =>This Inner Loop Header: Depth=1
	v_mov_b32_e32 v1, s3
	ds_read_b32 v1, v1
	s_add_i32 s2, s2, -1
	s_add_i32 s3, s3, 4
	s_cmp_lg_u32 s2, 0
	s_waitcnt lgkmcnt(0)
	v_add_u32_e32 v2, v2, v1
	s_cbranch_scc1 .LBB7_34
.LBB7_35:
	v_mov_b32_e32 v1, 0
	s_waitcnt lgkmcnt(0)
	ds_write_b32 v1, v2
.LBB7_36:
	s_or_b64 exec, exec, s[0:1]
	s_waitcnt lgkmcnt(0)
	s_barrier
	s_branch .LBB7_20
.LBB7_37:
	s_movk_i32 s0, 0x80
	v_cmp_gt_u32_e32 vcc, s0, v0
	s_barrier
	s_and_saveexec_b64 s[0:1], vcc
	s_cbranch_execz .LBB7_39
; %bb.38:
	ds_read2st64_b32 v[4:5], v3 offset1:2
	s_waitcnt lgkmcnt(0)
	v_add_u32_e32 v1, v4, v5
	ds_write_b32 v3, v1
.LBB7_39:
	s_or_b64 exec, exec, s[0:1]
	v_cmp_gt_u32_e32 vcc, 64, v0
	s_waitcnt lgkmcnt(0)
	s_barrier
	s_and_saveexec_b64 s[0:1], vcc
	s_cbranch_execz .LBB7_41
; %bb.40:
	ds_read2st64_b32 v[4:5], v3 offset1:1
	s_waitcnt lgkmcnt(0)
	v_add_u32_e32 v1, v4, v5
	ds_write_b32 v3, v1
.LBB7_41:
	s_or_b64 exec, exec, s[0:1]
	v_cmp_gt_u32_e32 vcc, 32, v0
	s_waitcnt lgkmcnt(0)
	s_barrier
	s_and_saveexec_b64 s[0:1], vcc
	s_cbranch_execz .LBB7_43
; %bb.42:
	ds_read2_b32 v[4:5], v3 offset1:32
	s_waitcnt lgkmcnt(0)
	v_add_u32_e32 v1, v4, v5
	ds_write_b32 v3, v1
.LBB7_43:
	s_or_b64 exec, exec, s[0:1]
	v_cmp_gt_u32_e32 vcc, 16, v0
	s_waitcnt lgkmcnt(0)
	s_barrier
	s_and_saveexec_b64 s[0:1], vcc
	s_cbranch_execz .LBB7_45
; %bb.44:
	ds_read2_b32 v[4:5], v3 offset1:16
	s_waitcnt lgkmcnt(0)
	v_add_u32_e32 v1, v4, v5
	ds_write_b32 v3, v1
.LBB7_45:
	;; [unrolled: 12-line block ×5, first 2 shown]
	s_or_b64 exec, exec, s[0:1]
	v_cmp_eq_u32_e32 vcc, 0, v0
	s_waitcnt lgkmcnt(0)
	s_barrier
	s_and_saveexec_b64 s[0:1], vcc
	s_cbranch_execz .LBB7_53
; %bb.52:
	v_mov_b32_e32 v1, 0
	ds_read_b64 v[2:3], v1
	s_waitcnt lgkmcnt(0)
	v_add_u32_e32 v2, v2, v3
	ds_write_b32 v1, v2
.LBB7_53:
	s_or_b64 exec, exec, s[0:1]
	s_waitcnt lgkmcnt(0)
	s_barrier
	v_cmp_eq_u32_e32 vcc, 0, v0
	s_and_saveexec_b64 s[0:1], vcc
	s_cbranch_execz .LBB7_21
.LBB7_54:
	s_load_dwordx2 s[0:1], s[4:5], 0x20
	v_mov_b32_e32 v0, 0
	ds_read_b32 v1, v0
	s_ashr_i32 s7, s6, 31
	s_lshl_b64 s[2:3], s[6:7], 2
	s_waitcnt lgkmcnt(0)
	s_add_u32 s0, s0, s2
	s_addc_u32 s1, s1, s3
	global_store_dword v0, v1, s[0:1]
	s_endpgm
	.section	.rodata,"a",@progbits
	.p2align	6, 0x0
	.amdhsa_kernel _ZN9rocsparseL14nnz_kernel_colILi256EiidEEv16rocsparse_order_T1_S2_PKT2_lPT0_
		.amdhsa_group_segment_fixed_size 1024
		.amdhsa_private_segment_fixed_size 0
		.amdhsa_kernarg_size 40
		.amdhsa_user_sgpr_count 6
		.amdhsa_user_sgpr_private_segment_buffer 1
		.amdhsa_user_sgpr_dispatch_ptr 0
		.amdhsa_user_sgpr_queue_ptr 0
		.amdhsa_user_sgpr_kernarg_segment_ptr 1
		.amdhsa_user_sgpr_dispatch_id 0
		.amdhsa_user_sgpr_flat_scratch_init 0
		.amdhsa_user_sgpr_kernarg_preload_length 0
		.amdhsa_user_sgpr_kernarg_preload_offset 0
		.amdhsa_user_sgpr_private_segment_size 0
		.amdhsa_uses_dynamic_stack 0
		.amdhsa_system_sgpr_private_segment_wavefront_offset 0
		.amdhsa_system_sgpr_workgroup_id_x 1
		.amdhsa_system_sgpr_workgroup_id_y 0
		.amdhsa_system_sgpr_workgroup_id_z 0
		.amdhsa_system_sgpr_workgroup_info 0
		.amdhsa_system_vgpr_workitem_id 0
		.amdhsa_next_free_vgpr 38
		.amdhsa_next_free_sgpr 20
		.amdhsa_accum_offset 40
		.amdhsa_reserve_vcc 1
		.amdhsa_reserve_flat_scratch 0
		.amdhsa_float_round_mode_32 0
		.amdhsa_float_round_mode_16_64 0
		.amdhsa_float_denorm_mode_32 3
		.amdhsa_float_denorm_mode_16_64 3
		.amdhsa_dx10_clamp 1
		.amdhsa_ieee_mode 1
		.amdhsa_fp16_overflow 0
		.amdhsa_tg_split 0
		.amdhsa_exception_fp_ieee_invalid_op 0
		.amdhsa_exception_fp_denorm_src 0
		.amdhsa_exception_fp_ieee_div_zero 0
		.amdhsa_exception_fp_ieee_overflow 0
		.amdhsa_exception_fp_ieee_underflow 0
		.amdhsa_exception_fp_ieee_inexact 0
		.amdhsa_exception_int_div_zero 0
	.end_amdhsa_kernel
	.section	.text._ZN9rocsparseL14nnz_kernel_colILi256EiidEEv16rocsparse_order_T1_S2_PKT2_lPT0_,"axG",@progbits,_ZN9rocsparseL14nnz_kernel_colILi256EiidEEv16rocsparse_order_T1_S2_PKT2_lPT0_,comdat
.Lfunc_end7:
	.size	_ZN9rocsparseL14nnz_kernel_colILi256EiidEEv16rocsparse_order_T1_S2_PKT2_lPT0_, .Lfunc_end7-_ZN9rocsparseL14nnz_kernel_colILi256EiidEEv16rocsparse_order_T1_S2_PKT2_lPT0_
                                        ; -- End function
	.section	.AMDGPU.csdata,"",@progbits
; Kernel info:
; codeLenInByte = 1728
; NumSgprs: 24
; NumVgprs: 38
; NumAgprs: 0
; TotalNumVgprs: 38
; ScratchSize: 0
; MemoryBound: 0
; FloatMode: 240
; IeeeMode: 1
; LDSByteSize: 1024 bytes/workgroup (compile time only)
; SGPRBlocks: 2
; VGPRBlocks: 4
; NumSGPRsForWavesPerEU: 24
; NumVGPRsForWavesPerEU: 38
; AccumOffset: 40
; Occupancy: 8
; WaveLimiterHint : 0
; COMPUTE_PGM_RSRC2:SCRATCH_EN: 0
; COMPUTE_PGM_RSRC2:USER_SGPR: 6
; COMPUTE_PGM_RSRC2:TRAP_HANDLER: 0
; COMPUTE_PGM_RSRC2:TGID_X_EN: 1
; COMPUTE_PGM_RSRC2:TGID_Y_EN: 0
; COMPUTE_PGM_RSRC2:TGID_Z_EN: 0
; COMPUTE_PGM_RSRC2:TIDIG_COMP_CNT: 0
; COMPUTE_PGM_RSRC3_GFX90A:ACCUM_OFFSET: 9
; COMPUTE_PGM_RSRC3_GFX90A:TG_SPLIT: 0
	.section	.text._ZN9rocsparseL14nnz_kernel_rowILi64ELi16Eii21rocsparse_complex_numIfEEEv16rocsparse_order_T2_S4_PKT3_lPT1_,"axG",@progbits,_ZN9rocsparseL14nnz_kernel_rowILi64ELi16Eii21rocsparse_complex_numIfEEEv16rocsparse_order_T2_S4_PKT3_lPT1_,comdat
	.globl	_ZN9rocsparseL14nnz_kernel_rowILi64ELi16Eii21rocsparse_complex_numIfEEEv16rocsparse_order_T2_S4_PKT3_lPT1_ ; -- Begin function _ZN9rocsparseL14nnz_kernel_rowILi64ELi16Eii21rocsparse_complex_numIfEEEv16rocsparse_order_T2_S4_PKT3_lPT1_
	.p2align	8
	.type	_ZN9rocsparseL14nnz_kernel_rowILi64ELi16Eii21rocsparse_complex_numIfEEEv16rocsparse_order_T2_S4_PKT3_lPT1_,@function
_ZN9rocsparseL14nnz_kernel_rowILi64ELi16Eii21rocsparse_complex_numIfEEEv16rocsparse_order_T2_S4_PKT3_lPT1_: ; @_ZN9rocsparseL14nnz_kernel_rowILi64ELi16Eii21rocsparse_complex_numIfEEEv16rocsparse_order_T2_S4_PKT3_lPT1_
; %bb.0:
	s_load_dword s0, s[4:5], 0x34
	s_load_dwordx2 s[34:35], s[4:5], 0x20
	s_load_dwordx8 s[24:31], s[4:5], 0x0
	v_and_b32_e32 v1, 0x3ff, v0
	v_bfe_u32 v0, v0, 10, 10
	s_waitcnt lgkmcnt(0)
	s_and_b32 s0, s0, 0xffff
	v_mad_u32_u24 v25, v0, s0, v1
	s_ashr_i32 s0, s26, 31
	s_lshr_b32 s0, s0, 26
	s_mov_b32 s8, 0
	v_and_b32_e32 v27, 63, v25
	s_lshl_b32 s27, s6, 8
	s_add_i32 s33, s26, s0
	v_lshrrev_b32_e32 v0, 4, v25
	s_mov_b32 s9, s8
	v_or_b32_e32 v10, s27, v27
	s_andn2_b32 s33, s33, 63
	v_and_b32_e32 v8, 0x7ffffc, v0
	s_mov_b32 s10, s8
	s_mov_b32 s11, s8
	v_pk_mov_b32 v[0:1], s[8:9], s[8:9] op_sel:[0,1]
	v_cmp_gt_i32_e32 vcc, s33, v8
	v_pk_mov_b32 v[2:3], s[10:11], s[10:11] op_sel:[0,1]
	v_or_b32_e32 v28, 64, v10
	s_and_saveexec_b64 s[36:37], vcc
	s_cbranch_execz .LBB8_28
; %bb.1:
	v_or_b32_e32 v0, 0x80, v10
	v_cmp_gt_i32_e64 s[4:5], s25, v0
	v_or_b32_e32 v0, 0xc0, v10
	v_cmp_gt_i32_e64 s[6:7], s25, v0
	v_add_u32_e32 v0, s27, v27
	v_ashrrev_i32_e32 v1, 31, v0
	v_mul_lo_u32 v4, s30, v1
	v_mul_lo_u32 v5, s31, v0
	v_mad_u64_u32 v[2:3], s[12:13], s30, v0, 0
	v_add3_u32 v3, v3, v4, v5
	v_lshrrev_b32_e32 v23, 6, v25
	v_lshlrev_b64 v[2:3], 3, v[2:3]
	v_lshlrev_b32_e32 v21, 5, v23
	v_lshlrev_b32_e32 v19, 2, v23
	v_add_co_u32_e32 v12, vcc, v2, v21
	v_or_b32_e32 v5, 3, v19
	v_addc_co_u32_e32 v9, vcc, 0, v3, vcc
	v_mad_u64_u32 v[2:3], s[12:13], s30, v5, 0
	v_mov_b32_e32 v4, v3
	v_mad_u64_u32 v[4:5], s[12:13], s31, v5, v[4:5]
	v_mov_b32_e32 v3, v4
	v_lshlrev_b64 v[2:3], 3, v[2:3]
	v_lshlrev_b64 v[4:5], 3, v[0:1]
	v_add_u32_e32 v1, 64, v0
	v_add_co_u32_e32 v14, vcc, v2, v4
	v_ashrrev_i32_e32 v2, 31, v1
	v_addc_co_u32_e32 v11, vcc, v3, v5, vcc
	v_mul_lo_u32 v6, s30, v2
	v_mul_lo_u32 v7, s31, v1
	v_mad_u64_u32 v[2:3], s[12:13], s30, v1, 0
	v_add3_u32 v3, v3, v6, v7
	v_lshlrev_b64 v[2:3], 3, v[2:3]
	v_add_co_u32_e32 v16, vcc, v2, v21
	v_or_b32_e32 v1, 2, v19
	v_addc_co_u32_e32 v13, vcc, 0, v3, vcc
	v_mad_u64_u32 v[2:3], s[12:13], s30, v1, 0
	v_mov_b32_e32 v6, v3
	v_mad_u64_u32 v[6:7], s[12:13], s31, v1, v[6:7]
	v_mov_b32_e32 v3, v6
	v_lshlrev_b64 v[2:3], 3, v[2:3]
	v_add_u32_e32 v1, 0x80, v0
	v_add_co_u32_e32 v18, vcc, v2, v4
	v_ashrrev_i32_e32 v2, 31, v1
	v_addc_co_u32_e32 v15, vcc, v3, v5, vcc
	v_mul_lo_u32 v6, s30, v2
	v_mul_lo_u32 v7, s31, v1
	v_mad_u64_u32 v[2:3], s[12:13], s30, v1, 0
	v_add3_u32 v3, v3, v6, v7
	v_lshlrev_b64 v[2:3], 3, v[2:3]
	v_add_co_u32_e32 v20, vcc, v2, v21
	v_addc_co_u32_e32 v17, vcc, 0, v3, vcc
	v_pk_mov_b32 v[2:3], s[30:31], s[30:31] op_sel:[0,1]
	v_mad_u64_u32 v[2:3], s[12:13], s30, v19, v[2:3]
	v_mov_b32_e32 v6, v3
	v_mad_u64_u32 v[6:7], s[12:13], s31, v19, v[6:7]
	v_mov_b32_e32 v3, v6
	v_lshlrev_b64 v[2:3], 3, v[2:3]
	v_add_u32_e32 v0, 0xc0, v0
	v_add_co_u32_e32 v22, vcc, v2, v4
	v_ashrrev_i32_e32 v1, 31, v0
	v_addc_co_u32_e32 v19, vcc, v3, v5, vcc
	v_mul_lo_u32 v2, s30, v1
	v_mul_lo_u32 v3, s31, v0
	v_mad_u64_u32 v[0:1], s[12:13], s30, v0, 0
	v_add3_u32 v1, v1, v2, v3
	v_lshlrev_b64 v[0:1], 3, v[0:1]
	v_add_co_u32_e32 v24, vcc, v0, v21
	v_addc_co_u32_e32 v21, vcc, 0, v1, vcc
	v_mad_u64_u32 v[0:1], s[12:13], s30, v23, 0
	v_mov_b32_e32 v2, v1
	v_mad_u64_u32 v[2:3], s[12:13], s31, v23, v[2:3]
	v_mov_b32_e32 v1, v2
	v_lshlrev_b64 v[0:1], 5, v[0:1]
	v_add_co_u32_e32 v26, vcc, v0, v4
	s_cmp_lg_u32 s24, 1
	v_addc_co_u32_e32 v23, vcc, v1, v5, vcc
	v_pk_mov_b32 v[0:1], s[8:9], s[8:9] op_sel:[0,1]
	s_cselect_b64 s[38:39], -1, 0
	v_cmp_gt_i32_e64 s[0:1], s25, v10
	v_cmp_gt_i32_e64 s[2:3], s25, v28
	s_lshl_b64 s[40:41], s[30:31], 9
	s_mov_b64 s[42:43], 0
	v_pk_mov_b32 v[2:3], s[10:11], s[10:11] op_sel:[0,1]
	s_branch .LBB8_4
.LBB8_2:                                ;   in Loop: Header=BB8_4 Depth=1
	v_pk_mov_b32 v[0:1], v[4:5], v[4:5] op_sel:[0,1]
	v_pk_mov_b32 v[2:3], v[6:7], v[6:7] op_sel:[0,1]
.LBB8_3:                                ;   in Loop: Header=BB8_4 Depth=1
	s_or_b64 exec, exec, s[22:23]
	v_add_co_u32_e32 v12, vcc, 0x200, v12
	v_addc_co_u32_e32 v9, vcc, 0, v9, vcc
	v_mov_b32_e32 v4, s41
	v_add_co_u32_e32 v14, vcc, s40, v14
	v_addc_co_u32_e32 v11, vcc, v11, v4, vcc
	v_add_co_u32_e32 v16, vcc, 0x200, v16
	v_addc_co_u32_e32 v13, vcc, 0, v13, vcc
	;; [unrolled: 2-line block ×5, first 2 shown]
	v_add_co_u32_e32 v24, vcc, 0x200, v24
	v_add_u32_e32 v8, 64, v8
	v_addc_co_u32_e32 v21, vcc, 0, v21, vcc
	v_cmp_le_i32_e32 vcc, s33, v8
	s_or_b64 s[42:43], vcc, s[42:43]
	v_add_co_u32_e32 v26, vcc, s40, v26
	v_addc_co_u32_e32 v23, vcc, v23, v4, vcc
	s_andn2_b64 exec, exec, s[42:43]
	s_cbranch_execz .LBB8_27
.LBB8_4:                                ; =>This Inner Loop Header: Depth=1
	v_cndmask_b32_e64 v4, 0, 1, s[38:39]
	v_cmp_ne_u32_e64 s[8:9], 1, v4
	s_and_saveexec_b64 s[44:45], s[0:1]
	s_cbranch_execnz .LBB8_8
; %bb.5:                                ;   in Loop: Header=BB8_4 Depth=1
	s_or_b64 exec, exec, s[44:45]
	s_and_saveexec_b64 s[44:45], s[2:3]
	s_cbranch_execnz .LBB8_13
.LBB8_6:                                ;   in Loop: Header=BB8_4 Depth=1
	s_or_b64 exec, exec, s[44:45]
	s_and_saveexec_b64 s[44:45], s[4:5]
	s_cbranch_execnz .LBB8_18
.LBB8_7:                                ;   in Loop: Header=BB8_4 Depth=1
	s_or_b64 exec, exec, s[44:45]
	s_and_saveexec_b64 s[22:23], s[6:7]
	s_cbranch_execz .LBB8_3
	s_branch .LBB8_23
.LBB8_8:                                ;   in Loop: Header=BB8_4 Depth=1
	s_and_b64 vcc, exec, s[8:9]
	v_add_u32_e32 v29, 1, v0
	s_cbranch_vccnz .LBB8_10
; %bb.9:                                ;   in Loop: Header=BB8_4 Depth=1
	v_mov_b32_e32 v5, s29
	v_add_co_u32_e32 v4, vcc, s28, v12
	v_addc_co_u32_e32 v5, vcc, v5, v9, vcc
	global_load_dwordx4 v[30:33], v[4:5], off
	global_load_dwordx4 v[34:37], v[4:5], off offset:16
	v_mov_b32_e32 v5, v1
	v_mov_b32_e32 v6, v2
	v_mov_b32_e32 v7, v3
	s_waitcnt vmcnt(1)
	v_cmp_neq_f32_e32 vcc, 0, v30
	v_cmp_neq_f32_e64 s[10:11], 0, v31
	s_or_b64 vcc, vcc, s[10:11]
	v_cmp_neq_f32_e64 s[12:13], 0, v32
	v_cmp_neq_f32_e64 s[14:15], 0, v33
	v_cndmask_b32_e32 v4, v0, v29, vcc
	v_add_u32_e32 v30, 1, v4
	s_or_b64 vcc, s[12:13], s[14:15]
	s_waitcnt vmcnt(0)
	v_cmp_neq_f32_e64 s[16:17], 0, v34
	v_cmp_neq_f32_e64 s[18:19], 0, v35
	v_cndmask_b32_e32 v4, v4, v30, vcc
	v_add_u32_e32 v30, 1, v4
	s_or_b64 vcc, s[16:17], s[18:19]
	v_cmp_neq_f32_e64 s[20:21], 0, v36
	v_cmp_neq_f32_e64 s[22:23], 0, v37
	v_cndmask_b32_e32 v4, v4, v30, vcc
	v_add_u32_e32 v30, 1, v4
	s_or_b64 vcc, s[20:21], s[22:23]
	v_cndmask_b32_e32 v4, v4, v30, vcc
	s_cbranch_execz .LBB8_11
	s_branch .LBB8_12
.LBB8_10:                               ;   in Loop: Header=BB8_4 Depth=1
                                        ; implicit-def: $vgpr4_vgpr5_vgpr6_vgpr7
.LBB8_11:                               ;   in Loop: Header=BB8_4 Depth=1
	v_mov_b32_e32 v38, s29
	v_add_co_u32_e32 v4, vcc, s28, v26
	v_addc_co_u32_e32 v5, vcc, v38, v23, vcc
	v_add_co_u32_e32 v6, vcc, s28, v22
	v_addc_co_u32_e32 v7, vcc, v38, v19, vcc
	;; [unrolled: 2-line block ×3, first 2 shown]
	global_load_dwordx2 v[32:33], v[4:5], off
	global_load_dwordx2 v[34:35], v[6:7], off
	;; [unrolled: 1-line block ×3, first 2 shown]
	v_add_co_u32_e32 v4, vcc, s28, v14
	v_addc_co_u32_e32 v5, vcc, v38, v11, vcc
	global_load_dwordx2 v[4:5], v[4:5], off
	s_waitcnt vmcnt(3)
	v_cmp_neq_f32_e32 vcc, 0, v32
	v_cmp_neq_f32_e64 s[10:11], 0, v33
	s_or_b64 vcc, vcc, s[10:11]
	s_waitcnt vmcnt(2)
	v_cmp_neq_f32_e64 s[12:13], 0, v34
	v_cmp_neq_f32_e64 s[14:15], 0, v35
	v_cndmask_b32_e32 v0, v0, v29, vcc
	s_or_b64 vcc, s[12:13], s[14:15]
	s_waitcnt vmcnt(0)
	v_cmp_neq_f32_e64 s[20:21], 0, v4
	v_add_u32_e32 v4, 1, v0
	v_cmp_neq_f32_e64 s[16:17], 0, v36
	v_cmp_neq_f32_e64 s[18:19], 0, v37
	v_cndmask_b32_e32 v0, v0, v4, vcc
	v_add_u32_e32 v4, 1, v0
	s_or_b64 vcc, s[16:17], s[18:19]
	v_cmp_neq_f32_e64 s[22:23], 0, v5
	v_cndmask_b32_e32 v0, v0, v4, vcc
	v_add_u32_e32 v4, 1, v0
	s_or_b64 vcc, s[20:21], s[22:23]
	v_cndmask_b32_e32 v0, v0, v4, vcc
	v_pk_mov_b32 v[6:7], v[2:3], v[2:3] op_sel:[0,1]
	v_pk_mov_b32 v[4:5], v[0:1], v[0:1] op_sel:[0,1]
.LBB8_12:                               ;   in Loop: Header=BB8_4 Depth=1
	v_pk_mov_b32 v[0:1], v[4:5], v[4:5] op_sel:[0,1]
	v_pk_mov_b32 v[2:3], v[6:7], v[6:7] op_sel:[0,1]
	s_or_b64 exec, exec, s[44:45]
	s_and_saveexec_b64 s[44:45], s[2:3]
	s_cbranch_execz .LBB8_6
.LBB8_13:                               ;   in Loop: Header=BB8_4 Depth=1
	s_and_b64 vcc, exec, s[8:9]
	v_add_u32_e32 v29, 1, v1
	s_cbranch_vccnz .LBB8_15
; %bb.14:                               ;   in Loop: Header=BB8_4 Depth=1
	v_mov_b32_e32 v5, s29
	v_add_co_u32_e32 v4, vcc, s28, v16
	v_addc_co_u32_e32 v5, vcc, v5, v13, vcc
	global_load_dwordx4 v[30:33], v[4:5], off
	global_load_dwordx4 v[34:37], v[4:5], off offset:16
	v_mov_b32_e32 v4, v0
	v_mov_b32_e32 v6, v2
	;; [unrolled: 1-line block ×3, first 2 shown]
	s_waitcnt vmcnt(1)
	v_cmp_neq_f32_e32 vcc, 0, v30
	v_cmp_neq_f32_e64 s[10:11], 0, v31
	s_or_b64 vcc, vcc, s[10:11]
	v_cmp_neq_f32_e64 s[12:13], 0, v32
	v_cmp_neq_f32_e64 s[14:15], 0, v33
	v_cndmask_b32_e32 v5, v1, v29, vcc
	v_add_u32_e32 v30, 1, v5
	s_or_b64 vcc, s[12:13], s[14:15]
	s_waitcnt vmcnt(0)
	v_cmp_neq_f32_e64 s[16:17], 0, v34
	v_cmp_neq_f32_e64 s[18:19], 0, v35
	v_cndmask_b32_e32 v5, v5, v30, vcc
	v_add_u32_e32 v30, 1, v5
	s_or_b64 vcc, s[16:17], s[18:19]
	v_cmp_neq_f32_e64 s[20:21], 0, v36
	v_cmp_neq_f32_e64 s[22:23], 0, v37
	v_cndmask_b32_e32 v5, v5, v30, vcc
	v_add_u32_e32 v30, 1, v5
	s_or_b64 vcc, s[20:21], s[22:23]
	v_cndmask_b32_e32 v5, v5, v30, vcc
	s_cbranch_execz .LBB8_16
	s_branch .LBB8_17
.LBB8_15:                               ;   in Loop: Header=BB8_4 Depth=1
                                        ; implicit-def: $vgpr4_vgpr5_vgpr6_vgpr7
.LBB8_16:                               ;   in Loop: Header=BB8_4 Depth=1
	v_mov_b32_e32 v38, s29
	v_add_co_u32_e32 v4, vcc, s28, v26
	v_addc_co_u32_e32 v5, vcc, v38, v23, vcc
	v_add_co_u32_e32 v6, vcc, s28, v22
	v_addc_co_u32_e32 v7, vcc, v38, v19, vcc
	;; [unrolled: 2-line block ×3, first 2 shown]
	global_load_dwordx2 v[32:33], v[4:5], off offset:512
	global_load_dwordx2 v[34:35], v[6:7], off offset:512
	;; [unrolled: 1-line block ×3, first 2 shown]
	v_add_co_u32_e32 v4, vcc, s28, v14
	v_addc_co_u32_e32 v5, vcc, v38, v11, vcc
	global_load_dwordx2 v[4:5], v[4:5], off offset:512
	s_waitcnt vmcnt(3)
	v_cmp_neq_f32_e32 vcc, 0, v32
	v_cmp_neq_f32_e64 s[10:11], 0, v33
	s_or_b64 vcc, vcc, s[10:11]
	s_waitcnt vmcnt(2)
	v_cmp_neq_f32_e64 s[12:13], 0, v34
	v_cmp_neq_f32_e64 s[14:15], 0, v35
	v_cndmask_b32_e32 v1, v1, v29, vcc
	s_or_b64 vcc, s[12:13], s[14:15]
	s_waitcnt vmcnt(0)
	v_cmp_neq_f32_e64 s[20:21], 0, v4
	v_add_u32_e32 v4, 1, v1
	v_cmp_neq_f32_e64 s[16:17], 0, v36
	v_cmp_neq_f32_e64 s[18:19], 0, v37
	v_cndmask_b32_e32 v1, v1, v4, vcc
	v_add_u32_e32 v4, 1, v1
	s_or_b64 vcc, s[16:17], s[18:19]
	v_cmp_neq_f32_e64 s[22:23], 0, v5
	v_cndmask_b32_e32 v1, v1, v4, vcc
	v_add_u32_e32 v4, 1, v1
	s_or_b64 vcc, s[20:21], s[22:23]
	v_cndmask_b32_e32 v1, v1, v4, vcc
	v_pk_mov_b32 v[6:7], v[2:3], v[2:3] op_sel:[0,1]
	v_pk_mov_b32 v[4:5], v[0:1], v[0:1] op_sel:[0,1]
.LBB8_17:                               ;   in Loop: Header=BB8_4 Depth=1
	v_pk_mov_b32 v[0:1], v[4:5], v[4:5] op_sel:[0,1]
	v_pk_mov_b32 v[2:3], v[6:7], v[6:7] op_sel:[0,1]
	s_or_b64 exec, exec, s[44:45]
	s_and_saveexec_b64 s[44:45], s[4:5]
	s_cbranch_execz .LBB8_7
.LBB8_18:                               ;   in Loop: Header=BB8_4 Depth=1
	s_and_b64 vcc, exec, s[8:9]
	v_add_u32_e32 v29, 1, v2
	s_cbranch_vccnz .LBB8_20
; %bb.19:                               ;   in Loop: Header=BB8_4 Depth=1
	v_mov_b32_e32 v5, s29
	v_add_co_u32_e32 v4, vcc, s28, v20
	v_addc_co_u32_e32 v5, vcc, v5, v17, vcc
	global_load_dwordx4 v[30:33], v[4:5], off
	global_load_dwordx4 v[34:37], v[4:5], off offset:16
	v_mov_b32_e32 v4, v0
	v_mov_b32_e32 v5, v1
	;; [unrolled: 1-line block ×3, first 2 shown]
	s_waitcnt vmcnt(1)
	v_cmp_neq_f32_e32 vcc, 0, v30
	v_cmp_neq_f32_e64 s[10:11], 0, v31
	s_or_b64 vcc, vcc, s[10:11]
	v_cmp_neq_f32_e64 s[12:13], 0, v32
	v_cmp_neq_f32_e64 s[14:15], 0, v33
	v_cndmask_b32_e32 v6, v2, v29, vcc
	v_add_u32_e32 v30, 1, v6
	s_or_b64 vcc, s[12:13], s[14:15]
	s_waitcnt vmcnt(0)
	v_cmp_neq_f32_e64 s[16:17], 0, v34
	v_cmp_neq_f32_e64 s[18:19], 0, v35
	v_cndmask_b32_e32 v6, v6, v30, vcc
	v_add_u32_e32 v30, 1, v6
	s_or_b64 vcc, s[16:17], s[18:19]
	v_cmp_neq_f32_e64 s[20:21], 0, v36
	v_cmp_neq_f32_e64 s[22:23], 0, v37
	v_cndmask_b32_e32 v6, v6, v30, vcc
	v_add_u32_e32 v30, 1, v6
	s_or_b64 vcc, s[20:21], s[22:23]
	v_cndmask_b32_e32 v6, v6, v30, vcc
	s_cbranch_execz .LBB8_21
	s_branch .LBB8_22
.LBB8_20:                               ;   in Loop: Header=BB8_4 Depth=1
                                        ; implicit-def: $vgpr4_vgpr5_vgpr6_vgpr7
.LBB8_21:                               ;   in Loop: Header=BB8_4 Depth=1
	v_mov_b32_e32 v38, s29
	v_add_co_u32_e32 v4, vcc, s28, v26
	v_addc_co_u32_e32 v5, vcc, v38, v23, vcc
	v_add_co_u32_e32 v6, vcc, s28, v22
	v_addc_co_u32_e32 v7, vcc, v38, v19, vcc
	v_add_co_u32_e32 v30, vcc, s28, v18
	v_addc_co_u32_e32 v31, vcc, v38, v15, vcc
	global_load_dwordx2 v[32:33], v[4:5], off offset:1024
	global_load_dwordx2 v[34:35], v[6:7], off offset:1024
	;; [unrolled: 1-line block ×3, first 2 shown]
	v_add_co_u32_e32 v4, vcc, s28, v14
	v_addc_co_u32_e32 v5, vcc, v38, v11, vcc
	global_load_dwordx2 v[4:5], v[4:5], off offset:1024
	s_waitcnt vmcnt(3)
	v_cmp_neq_f32_e32 vcc, 0, v32
	v_cmp_neq_f32_e64 s[10:11], 0, v33
	s_or_b64 vcc, vcc, s[10:11]
	s_waitcnt vmcnt(2)
	v_cmp_neq_f32_e64 s[12:13], 0, v34
	v_cmp_neq_f32_e64 s[14:15], 0, v35
	v_cndmask_b32_e32 v2, v2, v29, vcc
	s_or_b64 vcc, s[12:13], s[14:15]
	s_waitcnt vmcnt(0)
	v_cmp_neq_f32_e64 s[20:21], 0, v4
	v_add_u32_e32 v4, 1, v2
	v_cmp_neq_f32_e64 s[16:17], 0, v36
	v_cmp_neq_f32_e64 s[18:19], 0, v37
	v_cndmask_b32_e32 v2, v2, v4, vcc
	v_add_u32_e32 v4, 1, v2
	s_or_b64 vcc, s[16:17], s[18:19]
	v_cmp_neq_f32_e64 s[22:23], 0, v5
	v_cndmask_b32_e32 v2, v2, v4, vcc
	v_add_u32_e32 v4, 1, v2
	s_or_b64 vcc, s[20:21], s[22:23]
	v_cndmask_b32_e32 v2, v2, v4, vcc
	v_pk_mov_b32 v[6:7], v[2:3], v[2:3] op_sel:[0,1]
	v_pk_mov_b32 v[4:5], v[0:1], v[0:1] op_sel:[0,1]
.LBB8_22:                               ;   in Loop: Header=BB8_4 Depth=1
	v_pk_mov_b32 v[0:1], v[4:5], v[4:5] op_sel:[0,1]
	v_pk_mov_b32 v[2:3], v[6:7], v[6:7] op_sel:[0,1]
	s_or_b64 exec, exec, s[44:45]
	s_and_saveexec_b64 s[22:23], s[6:7]
	s_cbranch_execz .LBB8_3
.LBB8_23:                               ;   in Loop: Header=BB8_4 Depth=1
	s_and_b64 vcc, exec, s[8:9]
	v_add_u32_e32 v29, 1, v3
	s_cbranch_vccnz .LBB8_25
; %bb.24:                               ;   in Loop: Header=BB8_4 Depth=1
	v_mov_b32_e32 v5, s29
	v_add_co_u32_e32 v4, vcc, s28, v24
	v_addc_co_u32_e32 v5, vcc, v5, v21, vcc
	global_load_dwordx4 v[30:33], v[4:5], off
	global_load_dwordx4 v[34:37], v[4:5], off offset:16
	v_mov_b32_e32 v4, v0
	v_mov_b32_e32 v5, v1
	;; [unrolled: 1-line block ×3, first 2 shown]
	s_waitcnt vmcnt(1)
	v_cmp_neq_f32_e32 vcc, 0, v30
	v_cmp_neq_f32_e64 s[8:9], 0, v31
	s_or_b64 vcc, vcc, s[8:9]
	v_cmp_neq_f32_e64 s[10:11], 0, v32
	v_cmp_neq_f32_e64 s[12:13], 0, v33
	v_cndmask_b32_e32 v7, v3, v29, vcc
	v_add_u32_e32 v30, 1, v7
	s_or_b64 vcc, s[10:11], s[12:13]
	s_waitcnt vmcnt(0)
	v_cmp_neq_f32_e64 s[14:15], 0, v34
	v_cmp_neq_f32_e64 s[16:17], 0, v35
	v_cndmask_b32_e32 v7, v7, v30, vcc
	v_add_u32_e32 v30, 1, v7
	s_or_b64 vcc, s[14:15], s[16:17]
	v_cmp_neq_f32_e64 s[18:19], 0, v36
	v_cmp_neq_f32_e64 s[20:21], 0, v37
	v_cndmask_b32_e32 v7, v7, v30, vcc
	v_add_u32_e32 v30, 1, v7
	s_or_b64 vcc, s[18:19], s[20:21]
	v_cndmask_b32_e32 v7, v7, v30, vcc
	s_cbranch_execnz .LBB8_2
	s_branch .LBB8_26
.LBB8_25:                               ;   in Loop: Header=BB8_4 Depth=1
                                        ; implicit-def: $vgpr4_vgpr5_vgpr6_vgpr7
.LBB8_26:                               ;   in Loop: Header=BB8_4 Depth=1
	v_mov_b32_e32 v38, s29
	v_add_co_u32_e32 v4, vcc, s28, v26
	v_addc_co_u32_e32 v5, vcc, v38, v23, vcc
	v_add_co_u32_e32 v6, vcc, s28, v22
	v_addc_co_u32_e32 v7, vcc, v38, v19, vcc
	;; [unrolled: 2-line block ×3, first 2 shown]
	global_load_dwordx2 v[32:33], v[4:5], off offset:1536
	global_load_dwordx2 v[34:35], v[6:7], off offset:1536
	;; [unrolled: 1-line block ×3, first 2 shown]
	v_add_co_u32_e32 v4, vcc, s28, v14
	v_addc_co_u32_e32 v5, vcc, v38, v11, vcc
	global_load_dwordx2 v[4:5], v[4:5], off offset:1536
	s_waitcnt vmcnt(3)
	v_cmp_neq_f32_e32 vcc, 0, v32
	v_cmp_neq_f32_e64 s[8:9], 0, v33
	s_or_b64 vcc, vcc, s[8:9]
	s_waitcnt vmcnt(2)
	v_cmp_neq_f32_e64 s[10:11], 0, v34
	v_cmp_neq_f32_e64 s[12:13], 0, v35
	v_cndmask_b32_e32 v3, v3, v29, vcc
	s_or_b64 vcc, s[10:11], s[12:13]
	s_waitcnt vmcnt(0)
	v_cmp_neq_f32_e64 s[18:19], 0, v4
	v_add_u32_e32 v4, 1, v3
	v_cmp_neq_f32_e64 s[14:15], 0, v36
	v_cmp_neq_f32_e64 s[16:17], 0, v37
	v_cndmask_b32_e32 v3, v3, v4, vcc
	v_add_u32_e32 v4, 1, v3
	s_or_b64 vcc, s[14:15], s[16:17]
	v_cmp_neq_f32_e64 s[20:21], 0, v5
	v_cndmask_b32_e32 v3, v3, v4, vcc
	v_add_u32_e32 v4, 1, v3
	s_or_b64 vcc, s[18:19], s[20:21]
	v_cndmask_b32_e32 v3, v3, v4, vcc
	v_pk_mov_b32 v[6:7], v[2:3], v[2:3] op_sel:[0,1]
	v_pk_mov_b32 v[4:5], v[0:1], v[0:1] op_sel:[0,1]
	s_branch .LBB8_2
.LBB8_27:
	s_or_b64 exec, exec, s[42:43]
.LBB8_28:
	s_or_b64 exec, exec, s[36:37]
	s_sub_i32 s0, s26, s33
	s_cmp_lt_i32 s0, 1
	s_cbranch_scc1 .LBB8_126
; %bb.29:
	v_mov_b32_e32 v9, 0
	v_lshlrev_b64 v[4:5], 3, v[8:9]
	s_cmp_eq_u32 s24, 1
	v_mov_b32_e32 v6, s29
	v_add_co_u32_e32 v9, vcc, s28, v4
	s_cselect_b64 s[4:5], -1, 0
	s_cmp_lg_u32 s24, 1
	v_addc_co_u32_e32 v14, vcc, v6, v5, vcc
	s_cselect_b64 s[2:3], -1, 0
	v_cmp_gt_i32_e32 vcc, s25, v10
	v_ashrrev_i32_e32 v11, 31, v10
	s_and_saveexec_b64 s[6:7], vcc
	s_cbranch_execz .LBB8_53
; %bb.30:
	v_mul_lo_u32 v6, v10, s31
	v_mul_lo_u32 v7, v11, s30
	v_mad_u64_u32 v[4:5], s[0:1], v10, s30, 0
	v_add3_u32 v5, v5, v6, v7
	v_lshlrev_b64 v[4:5], 3, v[4:5]
	v_add_co_u32_e32 v4, vcc, v9, v4
	v_addc_co_u32_e32 v5, vcc, v14, v5, vcc
	v_lshlrev_b64 v[6:7], 3, v[10:11]
	v_mov_b32_e32 v12, s29
	v_add_co_u32_e32 v15, vcc, s28, v6
	v_addc_co_u32_e32 v16, vcc, v12, v7, vcc
	v_cmp_gt_i32_e32 vcc, s26, v8
	s_and_saveexec_b64 s[8:9], vcc
	s_cbranch_execz .LBB8_34
; %bb.31:
	s_andn2_b64 vcc, exec, s[4:5]
	v_pk_mov_b32 v[6:7], v[4:5], v[4:5] op_sel:[0,1]
	s_cbranch_vccnz .LBB8_33
; %bb.32:
	v_mad_u64_u32 v[6:7], s[0:1], v8, s30, 0
	v_mov_b32_e32 v12, v7
	v_mad_u64_u32 v[12:13], s[0:1], v8, s31, v[12:13]
	v_mov_b32_e32 v7, v12
	v_lshlrev_b64 v[6:7], 3, v[6:7]
	v_add_co_u32_e32 v6, vcc, v15, v6
	v_addc_co_u32_e32 v7, vcc, v16, v7, vcc
.LBB8_33:
	global_load_dwordx2 v[6:7], v[6:7], off
	s_waitcnt vmcnt(0)
	v_cmp_neq_f32_e32 vcc, 0, v6
	v_cmp_neq_f32_e64 s[0:1], 0, v7
	s_or_b64 vcc, vcc, s[0:1]
	v_addc_co_u32_e32 v0, vcc, 0, v0, vcc
.LBB8_34:
	s_or_b64 exec, exec, s[8:9]
	v_or_b32_e32 v17, 1, v8
	v_cmp_gt_i32_e32 vcc, s26, v17
	s_and_saveexec_b64 s[8:9], vcc
	s_cbranch_execz .LBB8_40
; %bb.35:
	s_andn2_b64 vcc, exec, s[2:3]
	s_cbranch_vccnz .LBB8_37
; %bb.36:
	v_add_co_u32_e32 v6, vcc, 8, v4
	v_addc_co_u32_e32 v7, vcc, 0, v5, vcc
	v_add_co_u32_e32 v12, vcc, 12, v4
	v_addc_co_u32_e32 v13, vcc, 0, v5, vcc
	s_cbranch_execz .LBB8_38
	s_branch .LBB8_39
.LBB8_37:
                                        ; implicit-def: $vgpr6_vgpr7
                                        ; implicit-def: $vgpr12_vgpr13
.LBB8_38:
	v_mad_u64_u32 v[6:7], s[0:1], v17, s30, 0
	v_mov_b32_e32 v12, v7
	v_mad_u64_u32 v[12:13], s[0:1], v17, s31, v[12:13]
	v_mov_b32_e32 v7, v12
	v_lshlrev_b64 v[6:7], 3, v[6:7]
	v_add_co_u32_e32 v6, vcc, v15, v6
	v_addc_co_u32_e32 v7, vcc, v16, v7, vcc
	v_add_co_u32_e32 v12, vcc, 4, v6
	v_addc_co_u32_e32 v13, vcc, 0, v7, vcc
.LBB8_39:
	global_load_dword v17, v[6:7], off
	global_load_dword v18, v[12:13], off
	s_waitcnt vmcnt(1)
	v_cmp_neq_f32_e32 vcc, 0, v17
	s_waitcnt vmcnt(0)
	v_cmp_neq_f32_e64 s[0:1], 0, v18
	s_or_b64 vcc, vcc, s[0:1]
	v_addc_co_u32_e32 v0, vcc, 0, v0, vcc
.LBB8_40:
	s_or_b64 exec, exec, s[8:9]
	v_or_b32_e32 v17, 2, v8
	v_cmp_gt_i32_e32 vcc, s26, v17
	s_and_saveexec_b64 s[8:9], vcc
	s_cbranch_execz .LBB8_46
; %bb.41:
	s_andn2_b64 vcc, exec, s[2:3]
	s_cbranch_vccnz .LBB8_43
; %bb.42:
	v_add_co_u32_e32 v6, vcc, 16, v4
	v_addc_co_u32_e32 v7, vcc, 0, v5, vcc
	v_add_co_u32_e32 v12, vcc, 20, v4
	v_addc_co_u32_e32 v13, vcc, 0, v5, vcc
	s_cbranch_execz .LBB8_44
	s_branch .LBB8_45
.LBB8_43:
                                        ; implicit-def: $vgpr6_vgpr7
                                        ; implicit-def: $vgpr12_vgpr13
.LBB8_44:
	v_mad_u64_u32 v[6:7], s[0:1], v17, s30, 0
	v_mov_b32_e32 v12, v7
	v_mad_u64_u32 v[12:13], s[0:1], v17, s31, v[12:13]
	v_mov_b32_e32 v7, v12
	v_lshlrev_b64 v[6:7], 3, v[6:7]
	v_add_co_u32_e32 v6, vcc, v15, v6
	v_addc_co_u32_e32 v7, vcc, v16, v7, vcc
	v_add_co_u32_e32 v12, vcc, 4, v6
	v_addc_co_u32_e32 v13, vcc, 0, v7, vcc
.LBB8_45:
	global_load_dword v17, v[6:7], off
	global_load_dword v18, v[12:13], off
	s_waitcnt vmcnt(1)
	v_cmp_neq_f32_e32 vcc, 0, v17
	s_waitcnt vmcnt(0)
	v_cmp_neq_f32_e64 s[0:1], 0, v18
	s_or_b64 vcc, vcc, s[0:1]
	v_addc_co_u32_e32 v0, vcc, 0, v0, vcc
.LBB8_46:
	s_or_b64 exec, exec, s[8:9]
	v_or_b32_e32 v12, 3, v8
	v_cmp_gt_i32_e32 vcc, s26, v12
	s_and_saveexec_b64 s[8:9], vcc
	s_cbranch_execz .LBB8_52
; %bb.47:
	s_andn2_b64 vcc, exec, s[2:3]
	s_cbranch_vccnz .LBB8_49
; %bb.48:
	v_add_co_u32_e32 v6, vcc, 24, v4
	v_addc_co_u32_e32 v7, vcc, 0, v5, vcc
	v_add_co_u32_e32 v4, vcc, 28, v4
	v_addc_co_u32_e32 v5, vcc, 0, v5, vcc
	s_cbranch_execz .LBB8_50
	s_branch .LBB8_51
.LBB8_49:
                                        ; implicit-def: $vgpr6_vgpr7
                                        ; implicit-def: $vgpr4_vgpr5
.LBB8_50:
	v_mad_u64_u32 v[4:5], s[0:1], v12, s30, 0
	v_mov_b32_e32 v6, v5
	v_mad_u64_u32 v[6:7], s[0:1], v12, s31, v[6:7]
	v_mov_b32_e32 v5, v6
	v_lshlrev_b64 v[4:5], 3, v[4:5]
	v_add_co_u32_e32 v6, vcc, v15, v4
	v_addc_co_u32_e32 v7, vcc, v16, v5, vcc
	v_add_co_u32_e32 v4, vcc, 4, v6
	v_addc_co_u32_e32 v5, vcc, 0, v7, vcc
.LBB8_51:
	global_load_dword v12, v[6:7], off
	global_load_dword v13, v[4:5], off
	s_waitcnt vmcnt(1)
	v_cmp_neq_f32_e32 vcc, 0, v12
	s_waitcnt vmcnt(0)
	v_cmp_neq_f32_e64 s[0:1], 0, v13
	s_or_b64 vcc, vcc, s[0:1]
	v_addc_co_u32_e32 v0, vcc, 0, v0, vcc
.LBB8_52:
	s_or_b64 exec, exec, s[8:9]
.LBB8_53:
	s_or_b64 exec, exec, s[6:7]
	v_cmp_gt_i32_e32 vcc, s25, v28
	s_and_saveexec_b64 s[6:7], vcc
	s_cbranch_execz .LBB8_77
; %bb.54:
	v_ashrrev_i32_e32 v4, 31, v28
	v_mul_lo_u32 v6, v28, s31
	v_mul_lo_u32 v7, v4, s30
	v_mad_u64_u32 v[4:5], s[0:1], v28, s30, 0
	v_add3_u32 v5, v5, v6, v7
	v_lshlrev_b64 v[4:5], 3, v[4:5]
	v_add_co_u32_e32 v4, vcc, v9, v4
	v_addc_co_u32_e32 v5, vcc, v14, v5, vcc
	v_lshlrev_b64 v[6:7], 3, v[10:11]
	v_mov_b32_e32 v12, s29
	v_add_co_u32_e32 v15, vcc, s28, v6
	v_addc_co_u32_e32 v16, vcc, v12, v7, vcc
	v_cmp_gt_i32_e32 vcc, s26, v8
	s_and_saveexec_b64 s[8:9], vcc
	s_cbranch_execz .LBB8_58
; %bb.55:
	s_andn2_b64 vcc, exec, s[4:5]
	v_pk_mov_b32 v[6:7], v[4:5], v[4:5] op_sel:[0,1]
	s_cbranch_vccnz .LBB8_57
; %bb.56:
	v_mad_u64_u32 v[6:7], s[0:1], v8, s30, 0
	v_mov_b32_e32 v12, v7
	v_mad_u64_u32 v[12:13], s[0:1], v8, s31, v[12:13]
	v_mov_b32_e32 v7, v12
	v_lshlrev_b64 v[6:7], 3, v[6:7]
	v_add_co_u32_e32 v6, vcc, v15, v6
	v_addc_co_u32_e32 v7, vcc, v16, v7, vcc
	v_add_co_u32_e32 v6, vcc, 0x200, v6
	v_addc_co_u32_e32 v7, vcc, 0, v7, vcc
.LBB8_57:
	global_load_dwordx2 v[6:7], v[6:7], off
	s_waitcnt vmcnt(0)
	v_cmp_neq_f32_e32 vcc, 0, v6
	v_cmp_neq_f32_e64 s[0:1], 0, v7
	s_or_b64 vcc, vcc, s[0:1]
	v_addc_co_u32_e32 v1, vcc, 0, v1, vcc
.LBB8_58:
	s_or_b64 exec, exec, s[8:9]
	v_or_b32_e32 v17, 1, v8
	v_cmp_gt_i32_e32 vcc, s26, v17
	s_and_saveexec_b64 s[8:9], vcc
	s_cbranch_execz .LBB8_64
; %bb.59:
	s_andn2_b64 vcc, exec, s[2:3]
	s_cbranch_vccnz .LBB8_61
; %bb.60:
	v_add_co_u32_e32 v6, vcc, 8, v4
	v_addc_co_u32_e32 v7, vcc, 0, v5, vcc
	v_add_co_u32_e32 v12, vcc, 12, v4
	v_addc_co_u32_e32 v13, vcc, 0, v5, vcc
	s_cbranch_execz .LBB8_62
	s_branch .LBB8_63
.LBB8_61:
                                        ; implicit-def: $vgpr6_vgpr7
                                        ; implicit-def: $vgpr12_vgpr13
.LBB8_62:
	v_mad_u64_u32 v[6:7], s[0:1], v17, s30, 0
	v_mov_b32_e32 v12, v7
	v_mad_u64_u32 v[12:13], s[0:1], v17, s31, v[12:13]
	v_mov_b32_e32 v7, v12
	v_lshlrev_b64 v[6:7], 3, v[6:7]
	v_add_co_u32_e32 v12, vcc, v15, v6
	v_addc_co_u32_e32 v13, vcc, v16, v7, vcc
	v_add_co_u32_e32 v6, vcc, 0x200, v12
	v_addc_co_u32_e32 v7, vcc, 0, v13, vcc
	;; [unrolled: 2-line block ×3, first 2 shown]
.LBB8_63:
	global_load_dword v17, v[6:7], off
	global_load_dword v18, v[12:13], off
	s_waitcnt vmcnt(1)
	v_cmp_neq_f32_e32 vcc, 0, v17
	s_waitcnt vmcnt(0)
	v_cmp_neq_f32_e64 s[0:1], 0, v18
	s_or_b64 vcc, vcc, s[0:1]
	v_addc_co_u32_e32 v1, vcc, 0, v1, vcc
.LBB8_64:
	s_or_b64 exec, exec, s[8:9]
	v_or_b32_e32 v17, 2, v8
	v_cmp_gt_i32_e32 vcc, s26, v17
	s_and_saveexec_b64 s[8:9], vcc
	s_cbranch_execz .LBB8_70
; %bb.65:
	s_andn2_b64 vcc, exec, s[2:3]
	s_cbranch_vccnz .LBB8_67
; %bb.66:
	v_add_co_u32_e32 v6, vcc, 16, v4
	v_addc_co_u32_e32 v7, vcc, 0, v5, vcc
	v_add_co_u32_e32 v12, vcc, 20, v4
	v_addc_co_u32_e32 v13, vcc, 0, v5, vcc
	s_cbranch_execz .LBB8_68
	s_branch .LBB8_69
.LBB8_67:
                                        ; implicit-def: $vgpr6_vgpr7
                                        ; implicit-def: $vgpr12_vgpr13
.LBB8_68:
	v_mad_u64_u32 v[6:7], s[0:1], v17, s30, 0
	v_mov_b32_e32 v12, v7
	v_mad_u64_u32 v[12:13], s[0:1], v17, s31, v[12:13]
	v_mov_b32_e32 v7, v12
	v_lshlrev_b64 v[6:7], 3, v[6:7]
	v_add_co_u32_e32 v12, vcc, v15, v6
	v_addc_co_u32_e32 v13, vcc, v16, v7, vcc
	v_add_co_u32_e32 v6, vcc, 0x200, v12
	v_addc_co_u32_e32 v7, vcc, 0, v13, vcc
	;; [unrolled: 2-line block ×3, first 2 shown]
.LBB8_69:
	global_load_dword v17, v[6:7], off
	global_load_dword v18, v[12:13], off
	s_waitcnt vmcnt(1)
	v_cmp_neq_f32_e32 vcc, 0, v17
	s_waitcnt vmcnt(0)
	v_cmp_neq_f32_e64 s[0:1], 0, v18
	s_or_b64 vcc, vcc, s[0:1]
	v_addc_co_u32_e32 v1, vcc, 0, v1, vcc
.LBB8_70:
	s_or_b64 exec, exec, s[8:9]
	v_or_b32_e32 v12, 3, v8
	v_cmp_gt_i32_e32 vcc, s26, v12
	s_and_saveexec_b64 s[8:9], vcc
	s_cbranch_execz .LBB8_76
; %bb.71:
	s_andn2_b64 vcc, exec, s[2:3]
	s_cbranch_vccnz .LBB8_73
; %bb.72:
	v_add_co_u32_e32 v6, vcc, 24, v4
	v_addc_co_u32_e32 v7, vcc, 0, v5, vcc
	v_add_co_u32_e32 v4, vcc, 28, v4
	v_addc_co_u32_e32 v5, vcc, 0, v5, vcc
	s_cbranch_execz .LBB8_74
	s_branch .LBB8_75
.LBB8_73:
                                        ; implicit-def: $vgpr6_vgpr7
                                        ; implicit-def: $vgpr4_vgpr5
.LBB8_74:
	v_mad_u64_u32 v[4:5], s[0:1], v12, s30, 0
	v_mov_b32_e32 v6, v5
	v_mad_u64_u32 v[6:7], s[0:1], v12, s31, v[6:7]
	v_mov_b32_e32 v5, v6
	v_lshlrev_b64 v[4:5], 3, v[4:5]
	v_add_co_u32_e32 v4, vcc, v15, v4
	v_addc_co_u32_e32 v5, vcc, v16, v5, vcc
	v_add_co_u32_e32 v6, vcc, 0x200, v4
	v_addc_co_u32_e32 v7, vcc, 0, v5, vcc
	;; [unrolled: 2-line block ×3, first 2 shown]
.LBB8_75:
	global_load_dword v12, v[6:7], off
	global_load_dword v13, v[4:5], off
	s_waitcnt vmcnt(1)
	v_cmp_neq_f32_e32 vcc, 0, v12
	s_waitcnt vmcnt(0)
	v_cmp_neq_f32_e64 s[0:1], 0, v13
	s_or_b64 vcc, vcc, s[0:1]
	v_addc_co_u32_e32 v1, vcc, 0, v1, vcc
.LBB8_76:
	s_or_b64 exec, exec, s[8:9]
.LBB8_77:
	s_or_b64 exec, exec, s[6:7]
	v_or_b32_e32 v4, 0x80, v10
	v_cmp_gt_i32_e32 vcc, s25, v4
	s_and_saveexec_b64 s[6:7], vcc
	s_cbranch_execz .LBB8_101
; %bb.78:
	v_ashrrev_i32_e32 v5, 31, v4
	v_mul_lo_u32 v6, v4, s31
	v_mul_lo_u32 v7, v5, s30
	v_mad_u64_u32 v[4:5], s[0:1], v4, s30, 0
	v_add3_u32 v5, v5, v6, v7
	v_lshlrev_b64 v[4:5], 3, v[4:5]
	v_add_co_u32_e32 v4, vcc, v9, v4
	v_addc_co_u32_e32 v5, vcc, v14, v5, vcc
	v_lshlrev_b64 v[6:7], 3, v[10:11]
	v_mov_b32_e32 v12, s29
	v_add_co_u32_e32 v15, vcc, s28, v6
	v_addc_co_u32_e32 v16, vcc, v12, v7, vcc
	v_cmp_gt_i32_e32 vcc, s26, v8
	s_and_saveexec_b64 s[8:9], vcc
	s_cbranch_execz .LBB8_82
; %bb.79:
	s_andn2_b64 vcc, exec, s[4:5]
	v_pk_mov_b32 v[6:7], v[4:5], v[4:5] op_sel:[0,1]
	s_cbranch_vccnz .LBB8_81
; %bb.80:
	v_mad_u64_u32 v[6:7], s[0:1], v8, s30, 0
	v_mov_b32_e32 v12, v7
	v_mad_u64_u32 v[12:13], s[0:1], v8, s31, v[12:13]
	v_mov_b32_e32 v7, v12
	v_lshlrev_b64 v[6:7], 3, v[6:7]
	v_add_co_u32_e32 v6, vcc, v15, v6
	v_addc_co_u32_e32 v7, vcc, v16, v7, vcc
	v_add_co_u32_e32 v6, vcc, 0x400, v6
	v_addc_co_u32_e32 v7, vcc, 0, v7, vcc
.LBB8_81:
	global_load_dwordx2 v[6:7], v[6:7], off
	s_waitcnt vmcnt(0)
	v_cmp_neq_f32_e32 vcc, 0, v6
	v_cmp_neq_f32_e64 s[0:1], 0, v7
	s_or_b64 vcc, vcc, s[0:1]
	v_addc_co_u32_e32 v2, vcc, 0, v2, vcc
.LBB8_82:
	s_or_b64 exec, exec, s[8:9]
	v_or_b32_e32 v17, 1, v8
	v_cmp_gt_i32_e32 vcc, s26, v17
	s_and_saveexec_b64 s[8:9], vcc
	s_cbranch_execz .LBB8_88
; %bb.83:
	s_andn2_b64 vcc, exec, s[2:3]
	s_cbranch_vccnz .LBB8_85
; %bb.84:
	v_add_co_u32_e32 v6, vcc, 8, v4
	v_addc_co_u32_e32 v7, vcc, 0, v5, vcc
	v_add_co_u32_e32 v12, vcc, 12, v4
	v_addc_co_u32_e32 v13, vcc, 0, v5, vcc
	s_cbranch_execz .LBB8_86
	s_branch .LBB8_87
.LBB8_85:
                                        ; implicit-def: $vgpr6_vgpr7
                                        ; implicit-def: $vgpr12_vgpr13
.LBB8_86:
	v_mad_u64_u32 v[6:7], s[0:1], v17, s30, 0
	v_mov_b32_e32 v12, v7
	v_mad_u64_u32 v[12:13], s[0:1], v17, s31, v[12:13]
	v_mov_b32_e32 v7, v12
	v_lshlrev_b64 v[6:7], 3, v[6:7]
	v_add_co_u32_e32 v12, vcc, v15, v6
	v_addc_co_u32_e32 v13, vcc, v16, v7, vcc
	v_add_co_u32_e32 v6, vcc, 0x400, v12
	v_addc_co_u32_e32 v7, vcc, 0, v13, vcc
	v_add_co_u32_e32 v12, vcc, 0x404, v12
	v_addc_co_u32_e32 v13, vcc, 0, v13, vcc
.LBB8_87:
	global_load_dword v17, v[6:7], off
	global_load_dword v18, v[12:13], off
	s_waitcnt vmcnt(1)
	v_cmp_neq_f32_e32 vcc, 0, v17
	s_waitcnt vmcnt(0)
	v_cmp_neq_f32_e64 s[0:1], 0, v18
	s_or_b64 vcc, vcc, s[0:1]
	v_addc_co_u32_e32 v2, vcc, 0, v2, vcc
.LBB8_88:
	s_or_b64 exec, exec, s[8:9]
	v_or_b32_e32 v17, 2, v8
	v_cmp_gt_i32_e32 vcc, s26, v17
	s_and_saveexec_b64 s[8:9], vcc
	s_cbranch_execz .LBB8_94
; %bb.89:
	s_andn2_b64 vcc, exec, s[2:3]
	s_cbranch_vccnz .LBB8_91
; %bb.90:
	v_add_co_u32_e32 v6, vcc, 16, v4
	v_addc_co_u32_e32 v7, vcc, 0, v5, vcc
	v_add_co_u32_e32 v12, vcc, 20, v4
	v_addc_co_u32_e32 v13, vcc, 0, v5, vcc
	s_cbranch_execz .LBB8_92
	s_branch .LBB8_93
.LBB8_91:
                                        ; implicit-def: $vgpr6_vgpr7
                                        ; implicit-def: $vgpr12_vgpr13
.LBB8_92:
	v_mad_u64_u32 v[6:7], s[0:1], v17, s30, 0
	v_mov_b32_e32 v12, v7
	v_mad_u64_u32 v[12:13], s[0:1], v17, s31, v[12:13]
	v_mov_b32_e32 v7, v12
	v_lshlrev_b64 v[6:7], 3, v[6:7]
	v_add_co_u32_e32 v12, vcc, v15, v6
	v_addc_co_u32_e32 v13, vcc, v16, v7, vcc
	v_add_co_u32_e32 v6, vcc, 0x400, v12
	v_addc_co_u32_e32 v7, vcc, 0, v13, vcc
	;; [unrolled: 2-line block ×3, first 2 shown]
.LBB8_93:
	global_load_dword v17, v[6:7], off
	global_load_dword v18, v[12:13], off
	s_waitcnt vmcnt(1)
	v_cmp_neq_f32_e32 vcc, 0, v17
	s_waitcnt vmcnt(0)
	v_cmp_neq_f32_e64 s[0:1], 0, v18
	s_or_b64 vcc, vcc, s[0:1]
	v_addc_co_u32_e32 v2, vcc, 0, v2, vcc
.LBB8_94:
	s_or_b64 exec, exec, s[8:9]
	v_or_b32_e32 v12, 3, v8
	v_cmp_gt_i32_e32 vcc, s26, v12
	s_and_saveexec_b64 s[8:9], vcc
	s_cbranch_execz .LBB8_100
; %bb.95:
	s_andn2_b64 vcc, exec, s[2:3]
	s_cbranch_vccnz .LBB8_97
; %bb.96:
	v_add_co_u32_e32 v6, vcc, 24, v4
	v_addc_co_u32_e32 v7, vcc, 0, v5, vcc
	v_add_co_u32_e32 v4, vcc, 28, v4
	v_addc_co_u32_e32 v5, vcc, 0, v5, vcc
	s_cbranch_execz .LBB8_98
	s_branch .LBB8_99
.LBB8_97:
                                        ; implicit-def: $vgpr6_vgpr7
                                        ; implicit-def: $vgpr4_vgpr5
.LBB8_98:
	v_mad_u64_u32 v[4:5], s[0:1], v12, s30, 0
	v_mov_b32_e32 v6, v5
	v_mad_u64_u32 v[6:7], s[0:1], v12, s31, v[6:7]
	v_mov_b32_e32 v5, v6
	v_lshlrev_b64 v[4:5], 3, v[4:5]
	v_add_co_u32_e32 v4, vcc, v15, v4
	v_addc_co_u32_e32 v5, vcc, v16, v5, vcc
	v_add_co_u32_e32 v6, vcc, 0x400, v4
	v_addc_co_u32_e32 v7, vcc, 0, v5, vcc
	;; [unrolled: 2-line block ×3, first 2 shown]
.LBB8_99:
	global_load_dword v12, v[6:7], off
	global_load_dword v13, v[4:5], off
	s_waitcnt vmcnt(1)
	v_cmp_neq_f32_e32 vcc, 0, v12
	s_waitcnt vmcnt(0)
	v_cmp_neq_f32_e64 s[0:1], 0, v13
	s_or_b64 vcc, vcc, s[0:1]
	v_addc_co_u32_e32 v2, vcc, 0, v2, vcc
.LBB8_100:
	s_or_b64 exec, exec, s[8:9]
.LBB8_101:
	s_or_b64 exec, exec, s[6:7]
	v_or_b32_e32 v4, 0xc0, v10
	v_cmp_gt_i32_e32 vcc, s25, v4
	s_and_saveexec_b64 s[6:7], vcc
	s_cbranch_execz .LBB8_125
; %bb.102:
	v_ashrrev_i32_e32 v5, 31, v4
	v_mul_lo_u32 v6, v4, s31
	v_mul_lo_u32 v7, v5, s30
	v_mad_u64_u32 v[4:5], s[0:1], v4, s30, 0
	v_add3_u32 v5, v5, v6, v7
	v_lshlrev_b64 v[4:5], 3, v[4:5]
	v_add_co_u32_e32 v4, vcc, v9, v4
	v_addc_co_u32_e32 v5, vcc, v14, v5, vcc
	v_lshlrev_b64 v[6:7], 3, v[10:11]
	v_mov_b32_e32 v10, s29
	v_add_co_u32_e32 v9, vcc, s28, v6
	v_addc_co_u32_e32 v12, vcc, v10, v7, vcc
	v_cmp_gt_i32_e32 vcc, s26, v8
	s_and_saveexec_b64 s[8:9], vcc
	s_cbranch_execz .LBB8_106
; %bb.103:
	s_andn2_b64 vcc, exec, s[4:5]
	v_pk_mov_b32 v[6:7], v[4:5], v[4:5] op_sel:[0,1]
	s_cbranch_vccnz .LBB8_105
; %bb.104:
	v_mad_u64_u32 v[6:7], s[0:1], v8, s30, 0
	v_mov_b32_e32 v10, v7
	v_mad_u64_u32 v[10:11], s[0:1], v8, s31, v[10:11]
	v_mov_b32_e32 v7, v10
	v_lshlrev_b64 v[6:7], 3, v[6:7]
	v_add_co_u32_e32 v6, vcc, v9, v6
	v_addc_co_u32_e32 v7, vcc, v12, v7, vcc
	v_add_co_u32_e32 v6, vcc, 0x600, v6
	v_addc_co_u32_e32 v7, vcc, 0, v7, vcc
.LBB8_105:
	global_load_dwordx2 v[6:7], v[6:7], off
	s_waitcnt vmcnt(0)
	v_cmp_neq_f32_e32 vcc, 0, v6
	v_cmp_neq_f32_e64 s[0:1], 0, v7
	s_or_b64 vcc, vcc, s[0:1]
	v_addc_co_u32_e32 v3, vcc, 0, v3, vcc
.LBB8_106:
	s_or_b64 exec, exec, s[8:9]
	v_or_b32_e32 v13, 1, v8
	v_cndmask_b32_e64 v6, 0, 1, s[2:3]
	v_cmp_gt_i32_e32 vcc, s26, v13
	v_cmp_ne_u32_e64 s[0:1], 1, v6
	s_and_saveexec_b64 s[4:5], vcc
	s_cbranch_execz .LBB8_112
; %bb.107:
	s_and_b64 vcc, exec, s[0:1]
	s_cbranch_vccnz .LBB8_109
; %bb.108:
	v_add_co_u32_e32 v6, vcc, 8, v4
	v_addc_co_u32_e32 v7, vcc, 0, v5, vcc
	v_add_co_u32_e32 v10, vcc, 12, v4
	v_addc_co_u32_e32 v11, vcc, 0, v5, vcc
	s_cbranch_execz .LBB8_110
	s_branch .LBB8_111
.LBB8_109:
                                        ; implicit-def: $vgpr6_vgpr7
                                        ; implicit-def: $vgpr10_vgpr11
.LBB8_110:
	v_mad_u64_u32 v[6:7], s[2:3], v13, s30, 0
	v_mov_b32_e32 v10, v7
	v_mad_u64_u32 v[10:11], s[2:3], v13, s31, v[10:11]
	v_mov_b32_e32 v7, v10
	v_lshlrev_b64 v[6:7], 3, v[6:7]
	v_add_co_u32_e32 v10, vcc, v9, v6
	v_addc_co_u32_e32 v11, vcc, v12, v7, vcc
	v_add_co_u32_e32 v6, vcc, 0x600, v10
	v_addc_co_u32_e32 v7, vcc, 0, v11, vcc
	;; [unrolled: 2-line block ×3, first 2 shown]
.LBB8_111:
	global_load_dword v13, v[6:7], off
	global_load_dword v14, v[10:11], off
	s_waitcnt vmcnt(1)
	v_cmp_neq_f32_e32 vcc, 0, v13
	s_waitcnt vmcnt(0)
	v_cmp_neq_f32_e64 s[2:3], 0, v14
	s_or_b64 vcc, vcc, s[2:3]
	v_addc_co_u32_e32 v3, vcc, 0, v3, vcc
.LBB8_112:
	s_or_b64 exec, exec, s[4:5]
	v_or_b32_e32 v13, 2, v8
	v_cmp_gt_i32_e32 vcc, s26, v13
	s_and_saveexec_b64 s[4:5], vcc
	s_cbranch_execz .LBB8_118
; %bb.113:
	s_and_b64 vcc, exec, s[0:1]
	s_cbranch_vccnz .LBB8_115
; %bb.114:
	v_add_co_u32_e32 v6, vcc, 16, v4
	v_addc_co_u32_e32 v7, vcc, 0, v5, vcc
	v_add_co_u32_e32 v10, vcc, 20, v4
	v_addc_co_u32_e32 v11, vcc, 0, v5, vcc
	s_cbranch_execz .LBB8_116
	s_branch .LBB8_117
.LBB8_115:
                                        ; implicit-def: $vgpr6_vgpr7
                                        ; implicit-def: $vgpr10_vgpr11
.LBB8_116:
	v_mad_u64_u32 v[6:7], s[2:3], v13, s30, 0
	v_mov_b32_e32 v10, v7
	v_mad_u64_u32 v[10:11], s[2:3], v13, s31, v[10:11]
	v_mov_b32_e32 v7, v10
	v_lshlrev_b64 v[6:7], 3, v[6:7]
	v_add_co_u32_e32 v10, vcc, v9, v6
	v_addc_co_u32_e32 v11, vcc, v12, v7, vcc
	v_add_co_u32_e32 v6, vcc, 0x600, v10
	v_addc_co_u32_e32 v7, vcc, 0, v11, vcc
	;; [unrolled: 2-line block ×3, first 2 shown]
.LBB8_117:
	global_load_dword v13, v[6:7], off
	global_load_dword v14, v[10:11], off
	s_waitcnt vmcnt(1)
	v_cmp_neq_f32_e32 vcc, 0, v13
	s_waitcnt vmcnt(0)
	v_cmp_neq_f32_e64 s[2:3], 0, v14
	s_or_b64 vcc, vcc, s[2:3]
	v_addc_co_u32_e32 v3, vcc, 0, v3, vcc
.LBB8_118:
	s_or_b64 exec, exec, s[4:5]
	v_or_b32_e32 v8, 3, v8
	v_cmp_gt_i32_e32 vcc, s26, v8
	s_and_saveexec_b64 s[2:3], vcc
	s_cbranch_execz .LBB8_124
; %bb.119:
	s_and_b64 vcc, exec, s[0:1]
	s_cbranch_vccnz .LBB8_121
; %bb.120:
	v_add_co_u32_e32 v6, vcc, 24, v4
	v_addc_co_u32_e32 v7, vcc, 0, v5, vcc
	v_add_co_u32_e32 v4, vcc, 28, v4
	v_addc_co_u32_e32 v5, vcc, 0, v5, vcc
	s_cbranch_execz .LBB8_122
	s_branch .LBB8_123
.LBB8_121:
                                        ; implicit-def: $vgpr6_vgpr7
                                        ; implicit-def: $vgpr4_vgpr5
.LBB8_122:
	v_mad_u64_u32 v[4:5], s[0:1], v8, s30, 0
	v_mov_b32_e32 v6, v5
	v_mad_u64_u32 v[6:7], s[0:1], v8, s31, v[6:7]
	v_mov_b32_e32 v5, v6
	v_lshlrev_b64 v[4:5], 3, v[4:5]
	v_add_co_u32_e32 v4, vcc, v9, v4
	v_addc_co_u32_e32 v5, vcc, v12, v5, vcc
	v_add_co_u32_e32 v6, vcc, 0x600, v4
	v_addc_co_u32_e32 v7, vcc, 0, v5, vcc
	;; [unrolled: 2-line block ×3, first 2 shown]
.LBB8_123:
	global_load_dword v8, v[6:7], off
	global_load_dword v9, v[4:5], off
	s_waitcnt vmcnt(1)
	v_cmp_neq_f32_e32 vcc, 0, v8
	s_waitcnt vmcnt(0)
	v_cmp_neq_f32_e64 s[0:1], 0, v9
	s_or_b64 vcc, vcc, s[0:1]
	v_addc_co_u32_e32 v3, vcc, 0, v3, vcc
.LBB8_124:
	s_or_b64 exec, exec, s[2:3]
.LBB8_125:
	s_or_b64 exec, exec, s[6:7]
.LBB8_126:
	v_lshlrev_b32_e32 v4, 2, v25
	s_mov_b32 s0, 0x1fffff00
	v_and_or_b32 v5, v4, s0, v27
	s_movk_i32 s0, 0x100
	v_lshlrev_b32_e32 v5, 2, v5
	v_cmp_gt_u32_e32 vcc, s0, v25
	ds_write2st64_b32 v5, v0, v1 offset1:1
	ds_write2st64_b32 v5, v2, v3 offset0:2 offset1:3
	s_waitcnt lgkmcnt(0)
	s_barrier
	s_and_saveexec_b64 s[0:1], vcc
	s_cbranch_execz .LBB8_129
; %bb.127:
	ds_read2st64_b32 v[2:3], v4 offset1:4
	ds_read2st64_b32 v[6:7], v4 offset0:8 offset1:12
	ds_read2st64_b32 v[8:9], v4 offset0:16 offset1:20
	;; [unrolled: 1-line block ×3, first 2 shown]
	v_add_u32_e32 v0, s27, v25
	s_waitcnt lgkmcnt(3)
	v_add_u32_e32 v1, v2, v3
	s_waitcnt lgkmcnt(2)
	v_add3_u32 v1, v1, v6, v7
	s_waitcnt lgkmcnt(1)
	v_add3_u32 v1, v1, v8, v9
	ds_read2st64_b32 v[2:3], v4 offset0:32 offset1:36
	ds_read2st64_b32 v[6:7], v4 offset0:40 offset1:44
	;; [unrolled: 1-line block ×4, first 2 shown]
	s_waitcnt lgkmcnt(4)
	v_add3_u32 v1, v1, v10, v11
	s_waitcnt lgkmcnt(3)
	v_add3_u32 v1, v1, v2, v3
	;; [unrolled: 2-line block ×5, first 2 shown]
	v_cmp_gt_i32_e32 vcc, s25, v0
	ds_write_b32 v4, v2
	s_and_b64 exec, exec, vcc
	s_cbranch_execz .LBB8_129
; %bb.128:
	v_ashrrev_i32_e32 v1, 31, v0
	v_lshlrev_b64 v[0:1], 2, v[0:1]
	v_mov_b32_e32 v3, s35
	v_add_co_u32_e32 v0, vcc, s34, v0
	v_addc_co_u32_e32 v1, vcc, v3, v1, vcc
	global_store_dword v[0:1], v2, off
.LBB8_129:
	s_endpgm
	.section	.rodata,"a",@progbits
	.p2align	6, 0x0
	.amdhsa_kernel _ZN9rocsparseL14nnz_kernel_rowILi64ELi16Eii21rocsparse_complex_numIfEEEv16rocsparse_order_T2_S4_PKT3_lPT1_
		.amdhsa_group_segment_fixed_size 16384
		.amdhsa_private_segment_fixed_size 0
		.amdhsa_kernarg_size 296
		.amdhsa_user_sgpr_count 6
		.amdhsa_user_sgpr_private_segment_buffer 1
		.amdhsa_user_sgpr_dispatch_ptr 0
		.amdhsa_user_sgpr_queue_ptr 0
		.amdhsa_user_sgpr_kernarg_segment_ptr 1
		.amdhsa_user_sgpr_dispatch_id 0
		.amdhsa_user_sgpr_flat_scratch_init 0
		.amdhsa_user_sgpr_kernarg_preload_length 0
		.amdhsa_user_sgpr_kernarg_preload_offset 0
		.amdhsa_user_sgpr_private_segment_size 0
		.amdhsa_uses_dynamic_stack 0
		.amdhsa_system_sgpr_private_segment_wavefront_offset 0
		.amdhsa_system_sgpr_workgroup_id_x 1
		.amdhsa_system_sgpr_workgroup_id_y 0
		.amdhsa_system_sgpr_workgroup_id_z 0
		.amdhsa_system_sgpr_workgroup_info 0
		.amdhsa_system_vgpr_workitem_id 1
		.amdhsa_next_free_vgpr 39
		.amdhsa_next_free_sgpr 46
		.amdhsa_accum_offset 40
		.amdhsa_reserve_vcc 1
		.amdhsa_reserve_flat_scratch 0
		.amdhsa_float_round_mode_32 0
		.amdhsa_float_round_mode_16_64 0
		.amdhsa_float_denorm_mode_32 3
		.amdhsa_float_denorm_mode_16_64 3
		.amdhsa_dx10_clamp 1
		.amdhsa_ieee_mode 1
		.amdhsa_fp16_overflow 0
		.amdhsa_tg_split 0
		.amdhsa_exception_fp_ieee_invalid_op 0
		.amdhsa_exception_fp_denorm_src 0
		.amdhsa_exception_fp_ieee_div_zero 0
		.amdhsa_exception_fp_ieee_overflow 0
		.amdhsa_exception_fp_ieee_underflow 0
		.amdhsa_exception_fp_ieee_inexact 0
		.amdhsa_exception_int_div_zero 0
	.end_amdhsa_kernel
	.section	.text._ZN9rocsparseL14nnz_kernel_rowILi64ELi16Eii21rocsparse_complex_numIfEEEv16rocsparse_order_T2_S4_PKT3_lPT1_,"axG",@progbits,_ZN9rocsparseL14nnz_kernel_rowILi64ELi16Eii21rocsparse_complex_numIfEEEv16rocsparse_order_T2_S4_PKT3_lPT1_,comdat
.Lfunc_end8:
	.size	_ZN9rocsparseL14nnz_kernel_rowILi64ELi16Eii21rocsparse_complex_numIfEEEv16rocsparse_order_T2_S4_PKT3_lPT1_, .Lfunc_end8-_ZN9rocsparseL14nnz_kernel_rowILi64ELi16Eii21rocsparse_complex_numIfEEEv16rocsparse_order_T2_S4_PKT3_lPT1_
                                        ; -- End function
	.section	.AMDGPU.csdata,"",@progbits
; Kernel info:
; codeLenInByte = 5472
; NumSgprs: 50
; NumVgprs: 39
; NumAgprs: 0
; TotalNumVgprs: 39
; ScratchSize: 0
; MemoryBound: 0
; FloatMode: 240
; IeeeMode: 1
; LDSByteSize: 16384 bytes/workgroup (compile time only)
; SGPRBlocks: 6
; VGPRBlocks: 4
; NumSGPRsForWavesPerEU: 50
; NumVGPRsForWavesPerEU: 39
; AccumOffset: 40
; Occupancy: 8
; WaveLimiterHint : 0
; COMPUTE_PGM_RSRC2:SCRATCH_EN: 0
; COMPUTE_PGM_RSRC2:USER_SGPR: 6
; COMPUTE_PGM_RSRC2:TRAP_HANDLER: 0
; COMPUTE_PGM_RSRC2:TGID_X_EN: 1
; COMPUTE_PGM_RSRC2:TGID_Y_EN: 0
; COMPUTE_PGM_RSRC2:TGID_Z_EN: 0
; COMPUTE_PGM_RSRC2:TIDIG_COMP_CNT: 1
; COMPUTE_PGM_RSRC3_GFX90A:ACCUM_OFFSET: 9
; COMPUTE_PGM_RSRC3_GFX90A:TG_SPLIT: 0
	.section	.text._ZN9rocsparseL14nnz_kernel_colILi256Eii21rocsparse_complex_numIfEEEv16rocsparse_order_T1_S4_PKT2_lPT0_,"axG",@progbits,_ZN9rocsparseL14nnz_kernel_colILi256Eii21rocsparse_complex_numIfEEEv16rocsparse_order_T1_S4_PKT2_lPT0_,comdat
	.globl	_ZN9rocsparseL14nnz_kernel_colILi256Eii21rocsparse_complex_numIfEEEv16rocsparse_order_T1_S4_PKT2_lPT0_ ; -- Begin function _ZN9rocsparseL14nnz_kernel_colILi256Eii21rocsparse_complex_numIfEEEv16rocsparse_order_T1_S4_PKT2_lPT0_
	.p2align	8
	.type	_ZN9rocsparseL14nnz_kernel_colILi256Eii21rocsparse_complex_numIfEEEv16rocsparse_order_T1_S4_PKT2_lPT0_,@function
_ZN9rocsparseL14nnz_kernel_colILi256Eii21rocsparse_complex_numIfEEEv16rocsparse_order_T1_S4_PKT2_lPT0_: ; @_ZN9rocsparseL14nnz_kernel_colILi256Eii21rocsparse_complex_numIfEEEv16rocsparse_order_T1_S4_PKT2_lPT0_
; %bb.0:
	s_load_dwordx2 s[10:11], s[4:5], 0x0
	s_load_dwordx4 s[12:15], s[4:5], 0x10
	s_waitcnt lgkmcnt(0)
	s_ashr_i32 s0, s11, 31
	s_lshr_b32 s0, s0, 24
	s_add_i32 s0, s11, s0
	s_and_b32 s16, s0, 0xffffff00
	s_cmp_eq_u32 s10, 1
	s_cbranch_scc1 .LBB9_6
; %bb.1:
	s_cmpk_lt_i32 s11, 0x100
	v_mov_b32_e32 v1, 0
	s_cbranch_scc1 .LBB9_7
; %bb.2:
	v_mad_u64_u32 v[2:3], s[0:1], s14, v0, 0
	v_mov_b32_e32 v4, v3
	s_ashr_i32 s7, s6, 31
	v_mad_u64_u32 v[4:5], s[0:1], s15, v0, v[4:5]
	s_lshl_b64 s[0:1], s[6:7], 3
	v_mov_b32_e32 v3, v4
	s_add_u32 s0, s12, s0
	v_lshlrev_b64 v[2:3], 3, v[2:3]
	s_addc_u32 s1, s13, s1
	v_mov_b32_e32 v1, s1
	v_add_co_u32_e32 v2, vcc, s0, v2
	v_addc_co_u32_e32 v1, vcc, v1, v3, vcc
	v_add_co_u32_e32 v2, vcc, 4, v2
	s_lshl_b64 s[2:3], s[14:15], 11
	v_addc_co_u32_e32 v3, vcc, 0, v1, vcc
	s_mov_b32 s7, 0
	v_mov_b32_e32 v1, 0
	v_mov_b32_e32 v4, s3
	s_branch .LBB9_4
.LBB9_3:                                ;   in Loop: Header=BB9_4 Depth=1
	s_or_b64 exec, exec, s[8:9]
	s_addk_i32 s7, 0x100
	v_add_co_u32_e32 v2, vcc, s2, v2
	s_cmp_ge_i32 s7, s16
	v_addc_co_u32_e32 v3, vcc, v3, v4, vcc
	s_cbranch_scc1 .LBB9_7
.LBB9_4:                                ; =>This Inner Loop Header: Depth=1
	v_add_u32_e32 v5, s7, v0
	v_cmp_gt_i32_e32 vcc, s11, v5
	s_and_saveexec_b64 s[8:9], vcc
	s_cbranch_execz .LBB9_3
; %bb.5:                                ;   in Loop: Header=BB9_4 Depth=1
	global_load_dwordx2 v[6:7], v[2:3], off offset:-4
	s_waitcnt vmcnt(0)
	v_cmp_neq_f32_e32 vcc, 0, v6
	v_cmp_neq_f32_e64 s[0:1], 0, v7
	s_or_b64 vcc, vcc, s[0:1]
	v_addc_co_u32_e32 v1, vcc, 0, v1, vcc
	s_branch .LBB9_3
.LBB9_6:
	s_mov_b64 s[18:19], 0
                                        ; implicit-def: $vgpr1
                                        ; implicit-def: $vgpr2_vgpr3
	s_cbranch_execnz .LBB9_10
	s_branch .LBB9_21
.LBB9_7:
	v_add_u32_e32 v4, s16, v0
	v_cmp_gt_i32_e32 vcc, s11, v4
	s_mov_b64 s[0:1], 0
	s_mov_b64 s[18:19], 0
                                        ; implicit-def: $vgpr2_vgpr3
	s_and_saveexec_b64 s[2:3], vcc
	s_xor_b64 s[2:3], exec, s[2:3]
	s_cbranch_execz .LBB9_9
; %bb.8:
	v_ashrrev_i32_e32 v2, 31, v4
	s_ashr_i32 s7, s6, 31
	v_mul_lo_u32 v6, v2, s14
	v_mad_u64_u32 v[2:3], s[8:9], v4, s14, 0
	v_mul_lo_u32 v5, v4, s15
	s_lshl_b64 s[8:9], s[6:7], 3
	v_add3_u32 v3, v3, v5, v6
	s_add_u32 s7, s8, s12
	v_lshlrev_b64 v[2:3], 3, v[2:3]
	s_addc_u32 s8, s9, s13
	v_mov_b32_e32 v4, s8
	v_add_co_u32_e32 v2, vcc, s7, v2
	s_mov_b64 s[18:19], exec
	v_addc_co_u32_e32 v3, vcc, v4, v3, vcc
.LBB9_9:
	s_or_b64 exec, exec, s[2:3]
	s_and_b64 vcc, exec, s[0:1]
	s_cbranch_vccz .LBB9_21
.LBB9_10:
	s_ashr_i32 s0, s6, 31
	s_mul_i32 s1, s6, s15
	s_mul_hi_u32 s2, s6, s14
	s_add_i32 s1, s2, s1
	s_mul_i32 s0, s0, s14
	s_add_i32 s1, s1, s0
	s_mul_i32 s0, s6, s14
	v_cmp_gt_i32_e32 vcc, s11, v0
	s_lshl_b64 s[14:15], s[0:1], 3
	v_cndmask_b32_e32 v2, 0, v0, vcc
	s_add_u32 s0, s12, s14
	s_addc_u32 s1, s13, s15
	v_lshlrev_b32_e32 v2, 3, v2
	v_mov_b32_e32 v3, s1
	v_add_co_u32_e32 v4, vcc, s0, v2
	v_mov_b32_e32 v1, 0
	s_mov_b32 s2, 0
	s_cmpk_lt_i32 s11, 0x100
	v_addc_co_u32_e32 v5, vcc, 0, v3, vcc
	s_cbranch_scc1 .LBB9_18
; %bb.11:
	s_max_i32 s0, s16, 0x100
	s_add_i32 s0, s0, -1
	s_cmpk_lg_i32 s0, 0xff
	v_mov_b32_e32 v1, 0
	s_cbranch_scc0 .LBB9_15
; %bb.12:
	s_lshr_b32 s7, s0, 8
	s_add_i32 s7, s7, 1
	s_and_b32 s10, s7, 0x1fffffe
	s_mov_b32 s23, 0
	s_movk_i32 s20, 0x100
	v_mov_b32_e32 v1, 0
	s_mov_b32 s17, s10
	s_mov_b32 s22, s23
	v_mov_b32_e32 v3, 0
.LBB9_13:                               ; =>This Inner Loop Header: Depth=1
	s_lshl_b64 s[0:1], s[22:23], 3
	s_mov_b32 s21, s23
	v_mov_b32_e32 v7, s1
	v_add_co_u32_e32 v6, vcc, s0, v4
	s_lshl_b64 s[2:3], s[20:21], 3
	v_addc_co_u32_e32 v7, vcc, v5, v7, vcc
	v_mov_b32_e32 v9, s3
	v_add_co_u32_e32 v8, vcc, s2, v4
	global_load_dwordx2 v[6:7], v[6:7], off
	v_addc_co_u32_e32 v9, vcc, v5, v9, vcc
	global_load_dwordx2 v[8:9], v[8:9], off
	s_addk_i32 s22, 0x200
	s_add_i32 s17, s17, -2
	s_addk_i32 s20, 0x200
	s_waitcnt vmcnt(1)
	v_cmp_neq_f32_e32 vcc, 0, v6
	v_cmp_neq_f32_e64 s[0:1], 0, v7
	s_or_b64 vcc, vcc, s[0:1]
	s_waitcnt vmcnt(0)
	v_cmp_neq_f32_e64 s[2:3], 0, v8
	v_cmp_neq_f32_e64 s[8:9], 0, v9
	v_addc_co_u32_e32 v1, vcc, 0, v1, vcc
	s_or_b64 vcc, s[2:3], s[8:9]
	s_cmp_lg_u32 s17, 0
	v_addc_co_u32_e32 v3, vcc, 0, v3, vcc
	s_cbranch_scc1 .LBB9_13
; %bb.14:
	s_lshl_b32 s2, s10, 8
	s_cmp_lg_u32 s7, s10
	v_add_u32_e32 v1, v1, v3
	s_cselect_b64 s[0:1], -1, 0
	s_and_b64 vcc, exec, s[0:1]
	s_cbranch_vccnz .LBB9_16
	s_branch .LBB9_18
.LBB9_15:
	s_cbranch_execz .LBB9_18
.LBB9_16:
	s_mov_b32 s3, 0
	s_lshl_b64 s[0:1], s[2:3], 3
	s_add_u32 s0, s12, s0
	s_addc_u32 s1, s13, s1
	s_add_u32 s0, s0, s14
	s_addc_u32 s1, s1, s15
	v_mov_b32_e32 v3, s1
	v_add_co_u32_e32 v2, vcc, s0, v2
	v_addc_co_u32_e32 v3, vcc, 0, v3, vcc
	v_add_co_u32_e32 v2, vcc, 4, v2
	v_addc_co_u32_e32 v3, vcc, 0, v3, vcc
.LBB9_17:                               ; =>This Inner Loop Header: Depth=1
	global_load_dwordx2 v[6:7], v[2:3], off offset:-4
	v_add_co_u32_e32 v2, vcc, 0x800, v2
	v_addc_co_u32_e32 v3, vcc, 0, v3, vcc
	s_addk_i32 s2, 0x100
	s_waitcnt vmcnt(0)
	v_cmp_neq_f32_e32 vcc, 0, v6
	v_cmp_neq_f32_e64 s[0:1], 0, v7
	s_or_b64 vcc, vcc, s[0:1]
	s_cmp_ge_i32 s2, s16
	v_addc_co_u32_e32 v1, vcc, 0, v1, vcc
	s_cbranch_scc0 .LBB9_17
.LBB9_18:
	v_add_u32_e32 v2, s16, v0
	v_cmp_gt_i32_e32 vcc, s11, v2
                                        ; implicit-def: $vgpr2_vgpr3
	s_and_saveexec_b64 s[0:1], vcc
; %bb.19:
	s_ashr_i32 s17, s16, 31
	s_lshl_b64 s[2:3], s[16:17], 3
	v_mov_b32_e32 v3, s3
	v_add_co_u32_e32 v2, vcc, s2, v4
	v_addc_co_u32_e32 v3, vcc, v5, v3, vcc
	s_or_b64 s[18:19], s[18:19], exec
; %bb.20:
	s_or_b64 exec, exec, s[0:1]
.LBB9_21:
	s_and_saveexec_b64 s[2:3], s[18:19]
	s_cbranch_execz .LBB9_23
; %bb.22:
	global_load_dwordx2 v[2:3], v[2:3], off
	s_waitcnt vmcnt(0)
	v_cmp_neq_f32_e32 vcc, 0, v2
	v_cmp_neq_f32_e64 s[0:1], 0, v3
	s_or_b64 vcc, vcc, s[0:1]
	v_addc_co_u32_e32 v1, vcc, 0, v1, vcc
.LBB9_23:
	s_or_b64 exec, exec, s[2:3]
	v_lshlrev_b32_e32 v3, 2, v0
	s_cmpk_lt_i32 s11, 0x100
	s_mov_b64 s[0:1], -1
	v_cmp_eq_u32_e32 vcc, 0, v0
	ds_write_b32 v3, v1
	s_waitcnt lgkmcnt(0)
	s_cbranch_scc1 .LBB9_27
; %bb.24:
	s_and_b64 vcc, exec, s[0:1]
	s_cbranch_vccnz .LBB9_42
.LBB9_25:
	v_cmp_eq_u32_e32 vcc, 0, v0
	s_and_saveexec_b64 s[0:1], vcc
	s_cbranch_execnz .LBB9_59
.LBB9_26:
	s_endpgm
.LBB9_27:
	s_cmp_gt_i32 s11, 1
	s_cselect_b64 s[0:1], -1, 0
	s_mov_b32 s7, 1
	s_and_b64 s[2:3], vcc, s[0:1]
	s_barrier
	s_and_saveexec_b64 s[0:1], s[2:3]
	s_cbranch_execz .LBB9_41
; %bb.28:
	v_mov_b32_e32 v1, 0
	ds_read_b32 v2, v1
	s_cmp_lt_u32 s11, 5
	s_cbranch_scc1 .LBB9_33
; %bb.29:
	s_add_i32 s8, s11, -5
	s_lshr_b32 s7, s8, 2
	s_add_i32 s7, s7, 1
	s_mov_b32 s2, 0
	s_cmp_lt_u32 s8, 28
	s_cbranch_scc1 .LBB9_34
; %bb.30:
	s_and_b32 s3, s7, 0x7ffffff8
	s_mov_b32 s8, 4
	v_mov_b32_e32 v1, 0
	v_mov_b32_e32 v4, 0
	;; [unrolled: 1-line block ×3, first 2 shown]
.LBB9_31:                               ; =>This Inner Loop Header: Depth=1
	v_mov_b32_e32 v36, s8
	ds_read2_b32 v[6:7], v36 offset1:1
	ds_read2_b32 v[8:9], v36 offset0:2 offset1:3
	ds_read2_b32 v[10:11], v36 offset0:4 offset1:5
	;; [unrolled: 1-line block ×15, first 2 shown]
	s_waitcnt lgkmcnt(14)
	v_add_u32_e32 v2, v2, v6
	v_add_u32_e32 v1, v1, v7
	v_add_u32_e32 v4, v4, v8
	v_add_u32_e32 v5, v5, v9
	s_waitcnt lgkmcnt(13)
	v_add_u32_e32 v1, v1, v11
	v_add_u32_e32 v2, v2, v10
	s_waitcnt lgkmcnt(12)
	v_add_u32_e32 v5, v5, v13
	v_add_u32_e32 v4, v4, v12
	;; [unrolled: 3-line block ×10, first 2 shown]
	s_add_i32 s2, s2, 32
	s_addk_i32 s8, 0x80
	s_add_i32 s3, s3, -8
	s_waitcnt lgkmcnt(3)
	v_add_u32_e32 v2, v2, v30
	v_add_u32_e32 v1, v1, v31
	s_waitcnt lgkmcnt(2)
	v_add_u32_e32 v4, v4, v32
	v_add_u32_e32 v5, v5, v33
	s_cmp_lg_u32 s3, 0
	s_waitcnt lgkmcnt(1)
	v_add_u32_e32 v1, v1, v35
	v_add_u32_e32 v2, v2, v34
	s_waitcnt lgkmcnt(0)
	v_add_u32_e32 v5, v5, v37
	v_add_u32_e32 v4, v4, v36
	s_cbranch_scc1 .LBB9_31
; %bb.32:
	s_and_b32 s3, s7, 7
	s_cmp_eq_u32 s3, 0
	s_cbranch_scc0 .LBB9_35
	s_branch .LBB9_37
.LBB9_33:
	s_cbranch_execnz .LBB9_38
	s_branch .LBB9_40
.LBB9_34:
	s_mov_b32 s3, s2
	v_pk_mov_b32 v[4:5], s[2:3], s[2:3] op_sel:[0,1]
	s_and_b32 s3, s7, 7
	s_cmp_eq_u32 s3, 0
	s_cbranch_scc1 .LBB9_37
.LBB9_35:
	s_lshl_b32 s2, s2, 2
	s_add_i32 s2, s2, 4
.LBB9_36:                               ; =>This Inner Loop Header: Depth=1
	v_mov_b32_e32 v8, s2
	ds_read2_b32 v[6:7], v8 offset1:1
	ds_read2_b32 v[8:9], v8 offset0:2 offset1:3
	s_add_i32 s2, s2, 16
	s_add_i32 s3, s3, -1
	s_cmp_lg_u32 s3, 0
	s_waitcnt lgkmcnt(1)
	v_add_u32_e32 v1, v1, v7
	v_add_u32_e32 v2, v2, v6
	s_waitcnt lgkmcnt(0)
	v_add_u32_e32 v5, v5, v9
	v_add_u32_e32 v4, v4, v8
	s_cbranch_scc1 .LBB9_36
.LBB9_37:
	s_add_i32 s2, s11, -1
	s_and_b32 s3, s2, -4
	s_or_b32 s7, s3, 1
	v_add_u32_e32 v1, v5, v1
	s_waitcnt lgkmcnt(0)
	v_add_u32_e32 v2, v4, v2
	s_cmp_lg_u32 s2, s3
	v_add_u32_e32 v2, v2, v1
	s_cselect_b64 s[2:3], -1, 0
	s_and_b64 vcc, exec, s[2:3]
	s_cbranch_vccz .LBB9_40
.LBB9_38:
	s_sub_i32 s2, s11, s7
	s_lshl_b32 s3, s7, 2
.LBB9_39:                               ; =>This Inner Loop Header: Depth=1
	v_mov_b32_e32 v1, s3
	ds_read_b32 v1, v1
	s_add_i32 s2, s2, -1
	s_add_i32 s3, s3, 4
	s_cmp_lg_u32 s2, 0
	s_waitcnt lgkmcnt(0)
	v_add_u32_e32 v2, v2, v1
	s_cbranch_scc1 .LBB9_39
.LBB9_40:
	v_mov_b32_e32 v1, 0
	s_waitcnt lgkmcnt(0)
	ds_write_b32 v1, v2
.LBB9_41:
	s_or_b64 exec, exec, s[0:1]
	s_waitcnt lgkmcnt(0)
	s_barrier
	s_branch .LBB9_25
.LBB9_42:
	s_movk_i32 s0, 0x80
	v_cmp_gt_u32_e32 vcc, s0, v0
	s_barrier
	s_and_saveexec_b64 s[0:1], vcc
	s_cbranch_execz .LBB9_44
; %bb.43:
	ds_read2st64_b32 v[4:5], v3 offset1:2
	s_waitcnt lgkmcnt(0)
	v_add_u32_e32 v1, v4, v5
	ds_write_b32 v3, v1
.LBB9_44:
	s_or_b64 exec, exec, s[0:1]
	v_cmp_gt_u32_e32 vcc, 64, v0
	s_waitcnt lgkmcnt(0)
	s_barrier
	s_and_saveexec_b64 s[0:1], vcc
	s_cbranch_execz .LBB9_46
; %bb.45:
	ds_read2st64_b32 v[4:5], v3 offset1:1
	s_waitcnt lgkmcnt(0)
	v_add_u32_e32 v1, v4, v5
	ds_write_b32 v3, v1
.LBB9_46:
	s_or_b64 exec, exec, s[0:1]
	v_cmp_gt_u32_e32 vcc, 32, v0
	s_waitcnt lgkmcnt(0)
	s_barrier
	s_and_saveexec_b64 s[0:1], vcc
	s_cbranch_execz .LBB9_48
; %bb.47:
	ds_read2_b32 v[4:5], v3 offset1:32
	s_waitcnt lgkmcnt(0)
	v_add_u32_e32 v1, v4, v5
	ds_write_b32 v3, v1
.LBB9_48:
	s_or_b64 exec, exec, s[0:1]
	v_cmp_gt_u32_e32 vcc, 16, v0
	s_waitcnt lgkmcnt(0)
	s_barrier
	s_and_saveexec_b64 s[0:1], vcc
	s_cbranch_execz .LBB9_50
; %bb.49:
	ds_read2_b32 v[4:5], v3 offset1:16
	s_waitcnt lgkmcnt(0)
	v_add_u32_e32 v1, v4, v5
	ds_write_b32 v3, v1
.LBB9_50:
	;; [unrolled: 12-line block ×5, first 2 shown]
	s_or_b64 exec, exec, s[0:1]
	v_cmp_eq_u32_e32 vcc, 0, v0
	s_waitcnt lgkmcnt(0)
	s_barrier
	s_and_saveexec_b64 s[0:1], vcc
	s_cbranch_execz .LBB9_58
; %bb.57:
	v_mov_b32_e32 v1, 0
	ds_read_b64 v[2:3], v1
	s_waitcnt lgkmcnt(0)
	v_add_u32_e32 v2, v2, v3
	ds_write_b32 v1, v2
.LBB9_58:
	s_or_b64 exec, exec, s[0:1]
	s_waitcnt lgkmcnt(0)
	s_barrier
	v_cmp_eq_u32_e32 vcc, 0, v0
	s_and_saveexec_b64 s[0:1], vcc
	s_cbranch_execz .LBB9_26
.LBB9_59:
	s_load_dwordx2 s[0:1], s[4:5], 0x20
	v_mov_b32_e32 v0, 0
	ds_read_b32 v1, v0
	s_ashr_i32 s7, s6, 31
	s_lshl_b64 s[2:3], s[6:7], 2
	s_waitcnt lgkmcnt(0)
	s_add_u32 s0, s0, s2
	s_addc_u32 s1, s1, s3
	global_store_dword v0, v1, s[0:1]
	s_endpgm
	.section	.rodata,"a",@progbits
	.p2align	6, 0x0
	.amdhsa_kernel _ZN9rocsparseL14nnz_kernel_colILi256Eii21rocsparse_complex_numIfEEEv16rocsparse_order_T1_S4_PKT2_lPT0_
		.amdhsa_group_segment_fixed_size 1024
		.amdhsa_private_segment_fixed_size 0
		.amdhsa_kernarg_size 40
		.amdhsa_user_sgpr_count 6
		.amdhsa_user_sgpr_private_segment_buffer 1
		.amdhsa_user_sgpr_dispatch_ptr 0
		.amdhsa_user_sgpr_queue_ptr 0
		.amdhsa_user_sgpr_kernarg_segment_ptr 1
		.amdhsa_user_sgpr_dispatch_id 0
		.amdhsa_user_sgpr_flat_scratch_init 0
		.amdhsa_user_sgpr_kernarg_preload_length 0
		.amdhsa_user_sgpr_kernarg_preload_offset 0
		.amdhsa_user_sgpr_private_segment_size 0
		.amdhsa_uses_dynamic_stack 0
		.amdhsa_system_sgpr_private_segment_wavefront_offset 0
		.amdhsa_system_sgpr_workgroup_id_x 1
		.amdhsa_system_sgpr_workgroup_id_y 0
		.amdhsa_system_sgpr_workgroup_id_z 0
		.amdhsa_system_sgpr_workgroup_info 0
		.amdhsa_system_vgpr_workitem_id 0
		.amdhsa_next_free_vgpr 38
		.amdhsa_next_free_sgpr 24
		.amdhsa_accum_offset 40
		.amdhsa_reserve_vcc 1
		.amdhsa_reserve_flat_scratch 0
		.amdhsa_float_round_mode_32 0
		.amdhsa_float_round_mode_16_64 0
		.amdhsa_float_denorm_mode_32 3
		.amdhsa_float_denorm_mode_16_64 3
		.amdhsa_dx10_clamp 1
		.amdhsa_ieee_mode 1
		.amdhsa_fp16_overflow 0
		.amdhsa_tg_split 0
		.amdhsa_exception_fp_ieee_invalid_op 0
		.amdhsa_exception_fp_denorm_src 0
		.amdhsa_exception_fp_ieee_div_zero 0
		.amdhsa_exception_fp_ieee_overflow 0
		.amdhsa_exception_fp_ieee_underflow 0
		.amdhsa_exception_fp_ieee_inexact 0
		.amdhsa_exception_int_div_zero 0
	.end_amdhsa_kernel
	.section	.text._ZN9rocsparseL14nnz_kernel_colILi256Eii21rocsparse_complex_numIfEEEv16rocsparse_order_T1_S4_PKT2_lPT0_,"axG",@progbits,_ZN9rocsparseL14nnz_kernel_colILi256Eii21rocsparse_complex_numIfEEEv16rocsparse_order_T1_S4_PKT2_lPT0_,comdat
.Lfunc_end9:
	.size	_ZN9rocsparseL14nnz_kernel_colILi256Eii21rocsparse_complex_numIfEEEv16rocsparse_order_T1_S4_PKT2_lPT0_, .Lfunc_end9-_ZN9rocsparseL14nnz_kernel_colILi256Eii21rocsparse_complex_numIfEEEv16rocsparse_order_T1_S4_PKT2_lPT0_
                                        ; -- End function
	.section	.AMDGPU.csdata,"",@progbits
; Kernel info:
; codeLenInByte = 2024
; NumSgprs: 28
; NumVgprs: 38
; NumAgprs: 0
; TotalNumVgprs: 38
; ScratchSize: 0
; MemoryBound: 0
; FloatMode: 240
; IeeeMode: 1
; LDSByteSize: 1024 bytes/workgroup (compile time only)
; SGPRBlocks: 3
; VGPRBlocks: 4
; NumSGPRsForWavesPerEU: 28
; NumVGPRsForWavesPerEU: 38
; AccumOffset: 40
; Occupancy: 8
; WaveLimiterHint : 0
; COMPUTE_PGM_RSRC2:SCRATCH_EN: 0
; COMPUTE_PGM_RSRC2:USER_SGPR: 6
; COMPUTE_PGM_RSRC2:TRAP_HANDLER: 0
; COMPUTE_PGM_RSRC2:TGID_X_EN: 1
; COMPUTE_PGM_RSRC2:TGID_Y_EN: 0
; COMPUTE_PGM_RSRC2:TGID_Z_EN: 0
; COMPUTE_PGM_RSRC2:TIDIG_COMP_CNT: 0
; COMPUTE_PGM_RSRC3_GFX90A:ACCUM_OFFSET: 9
; COMPUTE_PGM_RSRC3_GFX90A:TG_SPLIT: 0
	.section	.text._ZN9rocsparseL14nnz_kernel_rowILi64ELi16Eii21rocsparse_complex_numIdEEEv16rocsparse_order_T2_S4_PKT3_lPT1_,"axG",@progbits,_ZN9rocsparseL14nnz_kernel_rowILi64ELi16Eii21rocsparse_complex_numIdEEEv16rocsparse_order_T2_S4_PKT3_lPT1_,comdat
	.globl	_ZN9rocsparseL14nnz_kernel_rowILi64ELi16Eii21rocsparse_complex_numIdEEEv16rocsparse_order_T2_S4_PKT3_lPT1_ ; -- Begin function _ZN9rocsparseL14nnz_kernel_rowILi64ELi16Eii21rocsparse_complex_numIdEEEv16rocsparse_order_T2_S4_PKT3_lPT1_
	.p2align	8
	.type	_ZN9rocsparseL14nnz_kernel_rowILi64ELi16Eii21rocsparse_complex_numIdEEEv16rocsparse_order_T2_S4_PKT3_lPT1_,@function
_ZN9rocsparseL14nnz_kernel_rowILi64ELi16Eii21rocsparse_complex_numIdEEEv16rocsparse_order_T2_S4_PKT3_lPT1_: ; @_ZN9rocsparseL14nnz_kernel_rowILi64ELi16Eii21rocsparse_complex_numIdEEEv16rocsparse_order_T2_S4_PKT3_lPT1_
; %bb.0:
	s_load_dword s0, s[4:5], 0x34
	s_load_dwordx2 s[34:35], s[4:5], 0x20
	s_load_dwordx8 s[24:31], s[4:5], 0x0
	v_and_b32_e32 v1, 0x3ff, v0
	v_bfe_u32 v0, v0, 10, 10
	s_waitcnt lgkmcnt(0)
	s_and_b32 s0, s0, 0xffff
	v_mad_u32_u24 v25, v0, s0, v1
	s_ashr_i32 s0, s26, 31
	s_lshr_b32 s0, s0, 26
	s_mov_b32 s8, 0
	v_and_b32_e32 v27, 63, v25
	s_lshl_b32 s27, s6, 8
	s_add_i32 s33, s26, s0
	v_lshrrev_b32_e32 v0, 4, v25
	s_mov_b32 s9, s8
	v_or_b32_e32 v10, s27, v27
	s_andn2_b32 s33, s33, 63
	v_and_b32_e32 v8, 0x7ffffc, v0
	s_mov_b32 s10, s8
	s_mov_b32 s11, s8
	v_pk_mov_b32 v[0:1], s[8:9], s[8:9] op_sel:[0,1]
	v_cmp_gt_i32_e32 vcc, s33, v8
	v_pk_mov_b32 v[2:3], s[10:11], s[10:11] op_sel:[0,1]
	v_or_b32_e32 v28, 64, v10
	s_and_saveexec_b64 s[36:37], vcc
	s_cbranch_execz .LBB10_28
; %bb.1:
	v_or_b32_e32 v0, 0x80, v10
	v_cmp_gt_i32_e64 s[4:5], s25, v0
	v_or_b32_e32 v0, 0xc0, v10
	v_cmp_gt_i32_e64 s[6:7], s25, v0
	v_add_u32_e32 v0, s27, v27
	v_ashrrev_i32_e32 v1, 31, v0
	v_mul_lo_u32 v4, s30, v1
	v_mul_lo_u32 v5, s31, v0
	v_mad_u64_u32 v[2:3], s[12:13], s30, v0, 0
	v_add3_u32 v3, v3, v4, v5
	v_lshrrev_b32_e32 v23, 6, v25
	v_lshlrev_b64 v[2:3], 4, v[2:3]
	v_and_b32_e32 v21, 0x7ffffc0, v25
	v_lshlrev_b32_e32 v19, 2, v23
	v_add_co_u32_e32 v12, vcc, v2, v21
	v_or_b32_e32 v5, 3, v19
	v_addc_co_u32_e32 v9, vcc, 0, v3, vcc
	v_mad_u64_u32 v[2:3], s[12:13], s30, v5, 0
	v_mov_b32_e32 v4, v3
	v_mad_u64_u32 v[4:5], s[12:13], s31, v5, v[4:5]
	v_mov_b32_e32 v3, v4
	v_lshlrev_b64 v[2:3], 4, v[2:3]
	v_lshlrev_b64 v[4:5], 4, v[0:1]
	v_add_u32_e32 v1, 64, v0
	v_add_co_u32_e32 v14, vcc, v2, v4
	v_ashrrev_i32_e32 v2, 31, v1
	v_addc_co_u32_e32 v11, vcc, v3, v5, vcc
	v_mul_lo_u32 v6, s30, v2
	v_mul_lo_u32 v7, s31, v1
	v_mad_u64_u32 v[2:3], s[12:13], s30, v1, 0
	v_add3_u32 v3, v3, v6, v7
	v_lshlrev_b64 v[2:3], 4, v[2:3]
	v_add_co_u32_e32 v16, vcc, v2, v21
	v_or_b32_e32 v1, 2, v19
	v_addc_co_u32_e32 v13, vcc, 0, v3, vcc
	v_mad_u64_u32 v[2:3], s[12:13], s30, v1, 0
	v_mov_b32_e32 v6, v3
	v_mad_u64_u32 v[6:7], s[12:13], s31, v1, v[6:7]
	v_mov_b32_e32 v3, v6
	v_lshlrev_b64 v[2:3], 4, v[2:3]
	v_add_u32_e32 v1, 0x80, v0
	v_add_co_u32_e32 v18, vcc, v2, v4
	v_ashrrev_i32_e32 v2, 31, v1
	v_addc_co_u32_e32 v15, vcc, v3, v5, vcc
	v_mul_lo_u32 v6, s30, v2
	v_mul_lo_u32 v7, s31, v1
	v_mad_u64_u32 v[2:3], s[12:13], s30, v1, 0
	v_add3_u32 v3, v3, v6, v7
	v_lshlrev_b64 v[2:3], 4, v[2:3]
	v_add_co_u32_e32 v20, vcc, v2, v21
	v_addc_co_u32_e32 v17, vcc, 0, v3, vcc
	v_pk_mov_b32 v[2:3], s[30:31], s[30:31] op_sel:[0,1]
	v_mad_u64_u32 v[2:3], s[12:13], s30, v19, v[2:3]
	v_mov_b32_e32 v6, v3
	v_mad_u64_u32 v[6:7], s[12:13], s31, v19, v[6:7]
	v_mov_b32_e32 v3, v6
	v_lshlrev_b64 v[2:3], 4, v[2:3]
	v_add_u32_e32 v0, 0xc0, v0
	v_add_co_u32_e32 v22, vcc, v2, v4
	v_ashrrev_i32_e32 v1, 31, v0
	v_addc_co_u32_e32 v19, vcc, v3, v5, vcc
	v_mul_lo_u32 v2, s30, v1
	v_mul_lo_u32 v3, s31, v0
	v_mad_u64_u32 v[0:1], s[12:13], s30, v0, 0
	v_add3_u32 v1, v1, v2, v3
	v_lshlrev_b64 v[0:1], 4, v[0:1]
	v_add_co_u32_e32 v24, vcc, v0, v21
	v_addc_co_u32_e32 v21, vcc, 0, v1, vcc
	v_mad_u64_u32 v[0:1], s[12:13], s30, v23, 0
	v_mov_b32_e32 v2, v1
	v_mad_u64_u32 v[2:3], s[12:13], s31, v23, v[2:3]
	v_mov_b32_e32 v1, v2
	v_lshlrev_b64 v[0:1], 6, v[0:1]
	v_add_co_u32_e32 v26, vcc, v0, v4
	s_cmp_lg_u32 s24, 1
	v_addc_co_u32_e32 v23, vcc, v1, v5, vcc
	v_pk_mov_b32 v[0:1], s[8:9], s[8:9] op_sel:[0,1]
	s_cselect_b64 s[38:39], -1, 0
	v_cmp_gt_i32_e64 s[0:1], s25, v10
	v_cmp_gt_i32_e64 s[2:3], s25, v28
	s_lshl_b64 s[40:41], s[30:31], 10
	s_mov_b64 s[42:43], 0
	v_pk_mov_b32 v[2:3], s[10:11], s[10:11] op_sel:[0,1]
	s_branch .LBB10_4
.LBB10_2:                               ;   in Loop: Header=BB10_4 Depth=1
	v_pk_mov_b32 v[0:1], v[4:5], v[4:5] op_sel:[0,1]
	v_pk_mov_b32 v[2:3], v[6:7], v[6:7] op_sel:[0,1]
.LBB10_3:                               ;   in Loop: Header=BB10_4 Depth=1
	s_or_b64 exec, exec, s[22:23]
	v_add_co_u32_e32 v12, vcc, 0x400, v12
	v_addc_co_u32_e32 v9, vcc, 0, v9, vcc
	v_mov_b32_e32 v4, s41
	v_add_co_u32_e32 v14, vcc, s40, v14
	v_addc_co_u32_e32 v11, vcc, v11, v4, vcc
	v_add_co_u32_e32 v16, vcc, 0x400, v16
	v_addc_co_u32_e32 v13, vcc, 0, v13, vcc
	;; [unrolled: 2-line block ×5, first 2 shown]
	v_add_co_u32_e32 v24, vcc, 0x400, v24
	v_add_u32_e32 v8, 64, v8
	v_addc_co_u32_e32 v21, vcc, 0, v21, vcc
	v_cmp_le_i32_e32 vcc, s33, v8
	s_or_b64 s[42:43], vcc, s[42:43]
	v_add_co_u32_e32 v26, vcc, s40, v26
	v_addc_co_u32_e32 v23, vcc, v23, v4, vcc
	s_andn2_b64 exec, exec, s[42:43]
	s_cbranch_execz .LBB10_27
.LBB10_4:                               ; =>This Inner Loop Header: Depth=1
	v_cndmask_b32_e64 v4, 0, 1, s[38:39]
	v_cmp_ne_u32_e64 s[8:9], 1, v4
	s_and_saveexec_b64 s[44:45], s[0:1]
	s_cbranch_execnz .LBB10_8
; %bb.5:                                ;   in Loop: Header=BB10_4 Depth=1
	s_or_b64 exec, exec, s[44:45]
	s_and_saveexec_b64 s[44:45], s[2:3]
	s_cbranch_execnz .LBB10_13
.LBB10_6:                               ;   in Loop: Header=BB10_4 Depth=1
	s_or_b64 exec, exec, s[44:45]
	s_and_saveexec_b64 s[44:45], s[4:5]
	s_cbranch_execnz .LBB10_18
.LBB10_7:                               ;   in Loop: Header=BB10_4 Depth=1
	s_or_b64 exec, exec, s[44:45]
	s_and_saveexec_b64 s[22:23], s[6:7]
	s_cbranch_execz .LBB10_3
	s_branch .LBB10_23
.LBB10_8:                               ;   in Loop: Header=BB10_4 Depth=1
	s_and_b64 vcc, exec, s[8:9]
	v_add_u32_e32 v29, 1, v0
	s_cbranch_vccnz .LBB10_10
; %bb.9:                                ;   in Loop: Header=BB10_4 Depth=1
	v_mov_b32_e32 v5, s29
	v_add_co_u32_e32 v4, vcc, s28, v12
	v_addc_co_u32_e32 v5, vcc, v5, v9, vcc
	global_load_dwordx4 v[30:33], v[4:5], off
	global_load_dwordx4 v[34:37], v[4:5], off offset:16
	global_load_dwordx4 v[38:41], v[4:5], off offset:32
	;; [unrolled: 1-line block ×3, first 2 shown]
	v_mov_b32_e32 v5, v1
	v_mov_b32_e32 v6, v2
	;; [unrolled: 1-line block ×3, first 2 shown]
	s_waitcnt vmcnt(3)
	v_cmp_neq_f64_e32 vcc, 0, v[30:31]
	v_cmp_neq_f64_e64 s[10:11], 0, v[32:33]
	s_or_b64 vcc, vcc, s[10:11]
	s_waitcnt vmcnt(2)
	v_cmp_neq_f64_e64 s[12:13], 0, v[34:35]
	v_cmp_neq_f64_e64 s[14:15], 0, v[36:37]
	v_cndmask_b32_e32 v4, v0, v29, vcc
	v_add_u32_e32 v30, 1, v4
	s_or_b64 vcc, s[12:13], s[14:15]
	s_waitcnt vmcnt(1)
	v_cmp_neq_f64_e64 s[16:17], 0, v[38:39]
	v_cmp_neq_f64_e64 s[18:19], 0, v[40:41]
	v_cndmask_b32_e32 v4, v4, v30, vcc
	v_add_u32_e32 v30, 1, v4
	s_or_b64 vcc, s[16:17], s[18:19]
	;; [unrolled: 6-line block ×3, first 2 shown]
	v_cndmask_b32_e32 v4, v4, v30, vcc
	s_cbranch_execz .LBB10_11
	s_branch .LBB10_12
.LBB10_10:                              ;   in Loop: Header=BB10_4 Depth=1
                                        ; implicit-def: $vgpr4_vgpr5_vgpr6_vgpr7
.LBB10_11:                              ;   in Loop: Header=BB10_4 Depth=1
	v_mov_b32_e32 v39, s29
	v_add_co_u32_e32 v34, vcc, s28, v26
	v_addc_co_u32_e32 v35, vcc, v39, v23, vcc
	v_add_co_u32_e32 v36, vcc, s28, v22
	v_addc_co_u32_e32 v37, vcc, v39, v19, vcc
	global_load_dwordx4 v[4:7], v[34:35], off
	global_load_dwordx4 v[30:33], v[36:37], off
	v_add_co_u32_e32 v34, vcc, s28, v18
	v_addc_co_u32_e32 v35, vcc, v39, v15, vcc
	global_load_dwordx4 v[34:37], v[34:35], off
	v_add_co_u32_e32 v38, vcc, s28, v14
	v_addc_co_u32_e32 v39, vcc, v39, v11, vcc
	global_load_dwordx4 v[38:41], v[38:39], off
	s_waitcnt vmcnt(3)
	v_cmp_neq_f64_e32 vcc, 0, v[4:5]
	v_cmp_neq_f64_e64 s[10:11], 0, v[6:7]
	s_or_b64 vcc, vcc, s[10:11]
	s_waitcnt vmcnt(2)
	v_cmp_neq_f64_e64 s[12:13], 0, v[30:31]
	v_cmp_neq_f64_e64 s[14:15], 0, v[32:33]
	v_cndmask_b32_e32 v0, v0, v29, vcc
	v_add_u32_e32 v4, 1, v0
	s_or_b64 vcc, s[12:13], s[14:15]
	s_waitcnt vmcnt(1)
	v_cmp_neq_f64_e64 s[16:17], 0, v[34:35]
	v_cmp_neq_f64_e64 s[18:19], 0, v[36:37]
	v_cndmask_b32_e32 v0, v0, v4, vcc
	v_add_u32_e32 v4, 1, v0
	s_or_b64 vcc, s[16:17], s[18:19]
	;; [unrolled: 6-line block ×3, first 2 shown]
	v_cndmask_b32_e32 v0, v0, v4, vcc
	v_pk_mov_b32 v[6:7], v[2:3], v[2:3] op_sel:[0,1]
	v_pk_mov_b32 v[4:5], v[0:1], v[0:1] op_sel:[0,1]
.LBB10_12:                              ;   in Loop: Header=BB10_4 Depth=1
	v_pk_mov_b32 v[0:1], v[4:5], v[4:5] op_sel:[0,1]
	v_pk_mov_b32 v[2:3], v[6:7], v[6:7] op_sel:[0,1]
	s_or_b64 exec, exec, s[44:45]
	s_and_saveexec_b64 s[44:45], s[2:3]
	s_cbranch_execz .LBB10_6
.LBB10_13:                              ;   in Loop: Header=BB10_4 Depth=1
	s_and_b64 vcc, exec, s[8:9]
	v_add_u32_e32 v29, 1, v1
	s_cbranch_vccnz .LBB10_15
; %bb.14:                               ;   in Loop: Header=BB10_4 Depth=1
	v_mov_b32_e32 v5, s29
	v_add_co_u32_e32 v4, vcc, s28, v16
	v_addc_co_u32_e32 v5, vcc, v5, v13, vcc
	global_load_dwordx4 v[30:33], v[4:5], off
	global_load_dwordx4 v[34:37], v[4:5], off offset:16
	global_load_dwordx4 v[38:41], v[4:5], off offset:32
	;; [unrolled: 1-line block ×3, first 2 shown]
	v_mov_b32_e32 v4, v0
	v_mov_b32_e32 v6, v2
	;; [unrolled: 1-line block ×3, first 2 shown]
	s_waitcnt vmcnt(3)
	v_cmp_neq_f64_e32 vcc, 0, v[30:31]
	v_cmp_neq_f64_e64 s[10:11], 0, v[32:33]
	s_or_b64 vcc, vcc, s[10:11]
	s_waitcnt vmcnt(2)
	v_cmp_neq_f64_e64 s[12:13], 0, v[34:35]
	v_cmp_neq_f64_e64 s[14:15], 0, v[36:37]
	v_cndmask_b32_e32 v5, v1, v29, vcc
	v_add_u32_e32 v30, 1, v5
	s_or_b64 vcc, s[12:13], s[14:15]
	s_waitcnt vmcnt(1)
	v_cmp_neq_f64_e64 s[16:17], 0, v[38:39]
	v_cmp_neq_f64_e64 s[18:19], 0, v[40:41]
	v_cndmask_b32_e32 v5, v5, v30, vcc
	v_add_u32_e32 v30, 1, v5
	s_or_b64 vcc, s[16:17], s[18:19]
	;; [unrolled: 6-line block ×3, first 2 shown]
	v_cndmask_b32_e32 v5, v5, v30, vcc
	s_cbranch_execz .LBB10_16
	s_branch .LBB10_17
.LBB10_15:                              ;   in Loop: Header=BB10_4 Depth=1
                                        ; implicit-def: $vgpr4_vgpr5_vgpr6_vgpr7
.LBB10_16:                              ;   in Loop: Header=BB10_4 Depth=1
	v_mov_b32_e32 v39, s29
	v_add_co_u32_e32 v34, vcc, s28, v26
	v_addc_co_u32_e32 v35, vcc, v39, v23, vcc
	v_add_co_u32_e32 v36, vcc, s28, v22
	v_addc_co_u32_e32 v37, vcc, v39, v19, vcc
	global_load_dwordx4 v[4:7], v[34:35], off offset:1024
	global_load_dwordx4 v[30:33], v[36:37], off offset:1024
	v_add_co_u32_e32 v34, vcc, s28, v18
	v_addc_co_u32_e32 v35, vcc, v39, v15, vcc
	global_load_dwordx4 v[34:37], v[34:35], off offset:1024
	v_add_co_u32_e32 v38, vcc, s28, v14
	v_addc_co_u32_e32 v39, vcc, v39, v11, vcc
	global_load_dwordx4 v[38:41], v[38:39], off offset:1024
	s_waitcnt vmcnt(3)
	v_cmp_neq_f64_e32 vcc, 0, v[4:5]
	v_cmp_neq_f64_e64 s[10:11], 0, v[6:7]
	s_or_b64 vcc, vcc, s[10:11]
	s_waitcnt vmcnt(2)
	v_cmp_neq_f64_e64 s[12:13], 0, v[30:31]
	v_cmp_neq_f64_e64 s[14:15], 0, v[32:33]
	v_cndmask_b32_e32 v1, v1, v29, vcc
	v_add_u32_e32 v4, 1, v1
	s_or_b64 vcc, s[12:13], s[14:15]
	s_waitcnt vmcnt(1)
	v_cmp_neq_f64_e64 s[16:17], 0, v[34:35]
	v_cmp_neq_f64_e64 s[18:19], 0, v[36:37]
	v_cndmask_b32_e32 v1, v1, v4, vcc
	v_add_u32_e32 v4, 1, v1
	s_or_b64 vcc, s[16:17], s[18:19]
	;; [unrolled: 6-line block ×3, first 2 shown]
	v_cndmask_b32_e32 v1, v1, v4, vcc
	v_pk_mov_b32 v[6:7], v[2:3], v[2:3] op_sel:[0,1]
	v_pk_mov_b32 v[4:5], v[0:1], v[0:1] op_sel:[0,1]
.LBB10_17:                              ;   in Loop: Header=BB10_4 Depth=1
	v_pk_mov_b32 v[0:1], v[4:5], v[4:5] op_sel:[0,1]
	v_pk_mov_b32 v[2:3], v[6:7], v[6:7] op_sel:[0,1]
	s_or_b64 exec, exec, s[44:45]
	s_and_saveexec_b64 s[44:45], s[4:5]
	s_cbranch_execz .LBB10_7
.LBB10_18:                              ;   in Loop: Header=BB10_4 Depth=1
	s_and_b64 vcc, exec, s[8:9]
	v_add_u32_e32 v29, 1, v2
	s_cbranch_vccnz .LBB10_20
; %bb.19:                               ;   in Loop: Header=BB10_4 Depth=1
	v_mov_b32_e32 v5, s29
	v_add_co_u32_e32 v4, vcc, s28, v20
	v_addc_co_u32_e32 v5, vcc, v5, v17, vcc
	global_load_dwordx4 v[30:33], v[4:5], off
	global_load_dwordx4 v[34:37], v[4:5], off offset:16
	global_load_dwordx4 v[38:41], v[4:5], off offset:32
	;; [unrolled: 1-line block ×3, first 2 shown]
	v_mov_b32_e32 v4, v0
	v_mov_b32_e32 v5, v1
	;; [unrolled: 1-line block ×3, first 2 shown]
	s_waitcnt vmcnt(3)
	v_cmp_neq_f64_e32 vcc, 0, v[30:31]
	v_cmp_neq_f64_e64 s[10:11], 0, v[32:33]
	s_or_b64 vcc, vcc, s[10:11]
	s_waitcnt vmcnt(2)
	v_cmp_neq_f64_e64 s[12:13], 0, v[34:35]
	v_cmp_neq_f64_e64 s[14:15], 0, v[36:37]
	v_cndmask_b32_e32 v6, v2, v29, vcc
	v_add_u32_e32 v30, 1, v6
	s_or_b64 vcc, s[12:13], s[14:15]
	s_waitcnt vmcnt(1)
	v_cmp_neq_f64_e64 s[16:17], 0, v[38:39]
	v_cmp_neq_f64_e64 s[18:19], 0, v[40:41]
	v_cndmask_b32_e32 v6, v6, v30, vcc
	v_add_u32_e32 v30, 1, v6
	s_or_b64 vcc, s[16:17], s[18:19]
	;; [unrolled: 6-line block ×3, first 2 shown]
	v_cndmask_b32_e32 v6, v6, v30, vcc
	s_cbranch_execz .LBB10_21
	s_branch .LBB10_22
.LBB10_20:                              ;   in Loop: Header=BB10_4 Depth=1
                                        ; implicit-def: $vgpr4_vgpr5_vgpr6_vgpr7
.LBB10_21:                              ;   in Loop: Header=BB10_4 Depth=1
	v_mov_b32_e32 v39, s29
	v_add_co_u32_e32 v34, vcc, s28, v26
	v_addc_co_u32_e32 v35, vcc, v39, v23, vcc
	v_add_co_u32_e32 v36, vcc, s28, v22
	v_addc_co_u32_e32 v37, vcc, v39, v19, vcc
	global_load_dwordx4 v[4:7], v[34:35], off offset:2048
	global_load_dwordx4 v[30:33], v[36:37], off offset:2048
	v_add_co_u32_e32 v34, vcc, s28, v18
	v_addc_co_u32_e32 v35, vcc, v39, v15, vcc
	global_load_dwordx4 v[34:37], v[34:35], off offset:2048
	v_add_co_u32_e32 v38, vcc, s28, v14
	v_addc_co_u32_e32 v39, vcc, v39, v11, vcc
	global_load_dwordx4 v[38:41], v[38:39], off offset:2048
	s_waitcnt vmcnt(3)
	v_cmp_neq_f64_e32 vcc, 0, v[4:5]
	v_cmp_neq_f64_e64 s[10:11], 0, v[6:7]
	s_or_b64 vcc, vcc, s[10:11]
	s_waitcnt vmcnt(2)
	v_cmp_neq_f64_e64 s[12:13], 0, v[30:31]
	v_cmp_neq_f64_e64 s[14:15], 0, v[32:33]
	v_cndmask_b32_e32 v2, v2, v29, vcc
	v_add_u32_e32 v4, 1, v2
	s_or_b64 vcc, s[12:13], s[14:15]
	s_waitcnt vmcnt(1)
	v_cmp_neq_f64_e64 s[16:17], 0, v[34:35]
	v_cmp_neq_f64_e64 s[18:19], 0, v[36:37]
	v_cndmask_b32_e32 v2, v2, v4, vcc
	v_add_u32_e32 v4, 1, v2
	s_or_b64 vcc, s[16:17], s[18:19]
	;; [unrolled: 6-line block ×3, first 2 shown]
	v_cndmask_b32_e32 v2, v2, v4, vcc
	v_pk_mov_b32 v[6:7], v[2:3], v[2:3] op_sel:[0,1]
	v_pk_mov_b32 v[4:5], v[0:1], v[0:1] op_sel:[0,1]
.LBB10_22:                              ;   in Loop: Header=BB10_4 Depth=1
	v_pk_mov_b32 v[0:1], v[4:5], v[4:5] op_sel:[0,1]
	v_pk_mov_b32 v[2:3], v[6:7], v[6:7] op_sel:[0,1]
	s_or_b64 exec, exec, s[44:45]
	s_and_saveexec_b64 s[22:23], s[6:7]
	s_cbranch_execz .LBB10_3
.LBB10_23:                              ;   in Loop: Header=BB10_4 Depth=1
	s_and_b64 vcc, exec, s[8:9]
	v_add_u32_e32 v29, 1, v3
	s_cbranch_vccnz .LBB10_25
; %bb.24:                               ;   in Loop: Header=BB10_4 Depth=1
	v_mov_b32_e32 v5, s29
	v_add_co_u32_e32 v4, vcc, s28, v24
	v_addc_co_u32_e32 v5, vcc, v5, v21, vcc
	global_load_dwordx4 v[30:33], v[4:5], off
	global_load_dwordx4 v[34:37], v[4:5], off offset:16
	global_load_dwordx4 v[38:41], v[4:5], off offset:32
	global_load_dwordx4 v[42:45], v[4:5], off offset:48
	v_mov_b32_e32 v4, v0
	v_mov_b32_e32 v5, v1
	;; [unrolled: 1-line block ×3, first 2 shown]
	s_waitcnt vmcnt(3)
	v_cmp_neq_f64_e32 vcc, 0, v[30:31]
	v_cmp_neq_f64_e64 s[8:9], 0, v[32:33]
	s_or_b64 vcc, vcc, s[8:9]
	s_waitcnt vmcnt(2)
	v_cmp_neq_f64_e64 s[10:11], 0, v[34:35]
	v_cmp_neq_f64_e64 s[12:13], 0, v[36:37]
	v_cndmask_b32_e32 v7, v3, v29, vcc
	v_add_u32_e32 v30, 1, v7
	s_or_b64 vcc, s[10:11], s[12:13]
	s_waitcnt vmcnt(1)
	v_cmp_neq_f64_e64 s[14:15], 0, v[38:39]
	v_cmp_neq_f64_e64 s[16:17], 0, v[40:41]
	v_cndmask_b32_e32 v7, v7, v30, vcc
	v_add_u32_e32 v30, 1, v7
	s_or_b64 vcc, s[14:15], s[16:17]
	;; [unrolled: 6-line block ×3, first 2 shown]
	v_cndmask_b32_e32 v7, v7, v30, vcc
	s_cbranch_execnz .LBB10_2
	s_branch .LBB10_26
.LBB10_25:                              ;   in Loop: Header=BB10_4 Depth=1
                                        ; implicit-def: $vgpr4_vgpr5_vgpr6_vgpr7
.LBB10_26:                              ;   in Loop: Header=BB10_4 Depth=1
	v_mov_b32_e32 v39, s29
	v_add_co_u32_e32 v34, vcc, s28, v26
	v_addc_co_u32_e32 v35, vcc, v39, v23, vcc
	v_add_co_u32_e32 v36, vcc, s28, v22
	v_addc_co_u32_e32 v37, vcc, v39, v19, vcc
	global_load_dwordx4 v[4:7], v[34:35], off offset:3072
	global_load_dwordx4 v[30:33], v[36:37], off offset:3072
	v_add_co_u32_e32 v34, vcc, s28, v18
	v_addc_co_u32_e32 v35, vcc, v39, v15, vcc
	global_load_dwordx4 v[34:37], v[34:35], off offset:3072
	v_add_co_u32_e32 v38, vcc, s28, v14
	v_addc_co_u32_e32 v39, vcc, v39, v11, vcc
	global_load_dwordx4 v[38:41], v[38:39], off offset:3072
	s_waitcnt vmcnt(3)
	v_cmp_neq_f64_e32 vcc, 0, v[4:5]
	v_cmp_neq_f64_e64 s[8:9], 0, v[6:7]
	s_or_b64 vcc, vcc, s[8:9]
	s_waitcnt vmcnt(2)
	v_cmp_neq_f64_e64 s[10:11], 0, v[30:31]
	v_cmp_neq_f64_e64 s[12:13], 0, v[32:33]
	v_cndmask_b32_e32 v3, v3, v29, vcc
	v_add_u32_e32 v4, 1, v3
	s_or_b64 vcc, s[10:11], s[12:13]
	s_waitcnt vmcnt(1)
	v_cmp_neq_f64_e64 s[14:15], 0, v[34:35]
	v_cmp_neq_f64_e64 s[16:17], 0, v[36:37]
	v_cndmask_b32_e32 v3, v3, v4, vcc
	v_add_u32_e32 v4, 1, v3
	s_or_b64 vcc, s[14:15], s[16:17]
	;; [unrolled: 6-line block ×3, first 2 shown]
	v_cndmask_b32_e32 v3, v3, v4, vcc
	v_pk_mov_b32 v[6:7], v[2:3], v[2:3] op_sel:[0,1]
	v_pk_mov_b32 v[4:5], v[0:1], v[0:1] op_sel:[0,1]
	s_branch .LBB10_2
.LBB10_27:
	s_or_b64 exec, exec, s[42:43]
.LBB10_28:
	s_or_b64 exec, exec, s[36:37]
	s_sub_i32 s0, s26, s33
	s_cmp_lt_i32 s0, 1
	s_cbranch_scc1 .LBB10_126
; %bb.29:
	v_mov_b32_e32 v9, 0
	v_lshlrev_b64 v[4:5], 4, v[8:9]
	s_cmp_eq_u32 s24, 1
	v_mov_b32_e32 v6, s29
	v_add_co_u32_e32 v9, vcc, s28, v4
	s_cselect_b64 s[4:5], -1, 0
	s_cmp_lg_u32 s24, 1
	v_addc_co_u32_e32 v14, vcc, v6, v5, vcc
	s_cselect_b64 s[2:3], -1, 0
	v_cmp_gt_i32_e32 vcc, s25, v10
	v_ashrrev_i32_e32 v11, 31, v10
	s_and_saveexec_b64 s[6:7], vcc
	s_cbranch_execz .LBB10_53
; %bb.30:
	v_mul_lo_u32 v6, v10, s31
	v_mul_lo_u32 v7, v11, s30
	v_mad_u64_u32 v[4:5], s[0:1], v10, s30, 0
	v_add3_u32 v5, v5, v6, v7
	v_lshlrev_b64 v[4:5], 4, v[4:5]
	v_add_co_u32_e32 v4, vcc, v9, v4
	v_addc_co_u32_e32 v5, vcc, v14, v5, vcc
	v_lshlrev_b64 v[6:7], 4, v[10:11]
	v_mov_b32_e32 v12, s29
	v_add_co_u32_e32 v15, vcc, s28, v6
	v_addc_co_u32_e32 v16, vcc, v12, v7, vcc
	v_cmp_gt_i32_e32 vcc, s26, v8
	s_and_saveexec_b64 s[8:9], vcc
	s_cbranch_execz .LBB10_34
; %bb.31:
	s_andn2_b64 vcc, exec, s[4:5]
	v_pk_mov_b32 v[6:7], v[4:5], v[4:5] op_sel:[0,1]
	s_cbranch_vccnz .LBB10_33
; %bb.32:
	v_mad_u64_u32 v[6:7], s[0:1], v8, s30, 0
	v_mov_b32_e32 v12, v7
	v_mad_u64_u32 v[12:13], s[0:1], v8, s31, v[12:13]
	v_mov_b32_e32 v7, v12
	v_lshlrev_b64 v[6:7], 4, v[6:7]
	v_add_co_u32_e32 v6, vcc, v15, v6
	v_addc_co_u32_e32 v7, vcc, v16, v7, vcc
.LBB10_33:
	global_load_dwordx4 v[18:21], v[6:7], off
	s_waitcnt vmcnt(0)
	v_cmp_neq_f64_e32 vcc, 0, v[18:19]
	v_cmp_neq_f64_e64 s[0:1], 0, v[20:21]
	s_or_b64 vcc, vcc, s[0:1]
	v_addc_co_u32_e32 v0, vcc, 0, v0, vcc
.LBB10_34:
	s_or_b64 exec, exec, s[8:9]
	v_or_b32_e32 v17, 1, v8
	v_cmp_gt_i32_e32 vcc, s26, v17
	s_and_saveexec_b64 s[8:9], vcc
	s_cbranch_execz .LBB10_40
; %bb.35:
	s_andn2_b64 vcc, exec, s[2:3]
	s_cbranch_vccnz .LBB10_37
; %bb.36:
	v_add_co_u32_e32 v6, vcc, 16, v4
	v_addc_co_u32_e32 v7, vcc, 0, v5, vcc
	v_add_co_u32_e32 v12, vcc, 24, v4
	v_addc_co_u32_e32 v13, vcc, 0, v5, vcc
	s_cbranch_execz .LBB10_38
	s_branch .LBB10_39
.LBB10_37:
                                        ; implicit-def: $vgpr6_vgpr7
                                        ; implicit-def: $vgpr12_vgpr13
.LBB10_38:
	v_mad_u64_u32 v[6:7], s[0:1], v17, s30, 0
	v_mov_b32_e32 v12, v7
	v_mad_u64_u32 v[12:13], s[0:1], v17, s31, v[12:13]
	v_mov_b32_e32 v7, v12
	v_lshlrev_b64 v[6:7], 4, v[6:7]
	v_add_co_u32_e32 v6, vcc, v15, v6
	v_addc_co_u32_e32 v7, vcc, v16, v7, vcc
	v_add_co_u32_e32 v12, vcc, 8, v6
	v_addc_co_u32_e32 v13, vcc, 0, v7, vcc
.LBB10_39:
	global_load_dwordx2 v[18:19], v[6:7], off
	global_load_dwordx2 v[20:21], v[12:13], off
	s_waitcnt vmcnt(1)
	v_cmp_neq_f64_e32 vcc, 0, v[18:19]
	s_waitcnt vmcnt(0)
	v_cmp_neq_f64_e64 s[0:1], 0, v[20:21]
	s_or_b64 vcc, vcc, s[0:1]
	v_addc_co_u32_e32 v0, vcc, 0, v0, vcc
.LBB10_40:
	s_or_b64 exec, exec, s[8:9]
	v_or_b32_e32 v17, 2, v8
	v_cmp_gt_i32_e32 vcc, s26, v17
	s_and_saveexec_b64 s[8:9], vcc
	s_cbranch_execz .LBB10_46
; %bb.41:
	s_andn2_b64 vcc, exec, s[2:3]
	s_cbranch_vccnz .LBB10_43
; %bb.42:
	v_add_co_u32_e32 v6, vcc, 32, v4
	v_addc_co_u32_e32 v7, vcc, 0, v5, vcc
	v_add_co_u32_e32 v12, vcc, 40, v4
	v_addc_co_u32_e32 v13, vcc, 0, v5, vcc
	s_cbranch_execz .LBB10_44
	s_branch .LBB10_45
.LBB10_43:
                                        ; implicit-def: $vgpr6_vgpr7
                                        ; implicit-def: $vgpr12_vgpr13
.LBB10_44:
	v_mad_u64_u32 v[6:7], s[0:1], v17, s30, 0
	v_mov_b32_e32 v12, v7
	v_mad_u64_u32 v[12:13], s[0:1], v17, s31, v[12:13]
	v_mov_b32_e32 v7, v12
	v_lshlrev_b64 v[6:7], 4, v[6:7]
	v_add_co_u32_e32 v6, vcc, v15, v6
	v_addc_co_u32_e32 v7, vcc, v16, v7, vcc
	v_add_co_u32_e32 v12, vcc, 8, v6
	v_addc_co_u32_e32 v13, vcc, 0, v7, vcc
.LBB10_45:
	global_load_dwordx2 v[18:19], v[6:7], off
	global_load_dwordx2 v[20:21], v[12:13], off
	s_waitcnt vmcnt(1)
	v_cmp_neq_f64_e32 vcc, 0, v[18:19]
	s_waitcnt vmcnt(0)
	v_cmp_neq_f64_e64 s[0:1], 0, v[20:21]
	s_or_b64 vcc, vcc, s[0:1]
	v_addc_co_u32_e32 v0, vcc, 0, v0, vcc
.LBB10_46:
	s_or_b64 exec, exec, s[8:9]
	v_or_b32_e32 v12, 3, v8
	v_cmp_gt_i32_e32 vcc, s26, v12
	s_and_saveexec_b64 s[8:9], vcc
	s_cbranch_execz .LBB10_52
; %bb.47:
	s_andn2_b64 vcc, exec, s[2:3]
	s_cbranch_vccnz .LBB10_49
; %bb.48:
	v_add_co_u32_e32 v6, vcc, 48, v4
	v_addc_co_u32_e32 v7, vcc, 0, v5, vcc
	v_add_co_u32_e32 v4, vcc, 56, v4
	v_addc_co_u32_e32 v5, vcc, 0, v5, vcc
	s_cbranch_execz .LBB10_50
	s_branch .LBB10_51
.LBB10_49:
                                        ; implicit-def: $vgpr6_vgpr7
                                        ; implicit-def: $vgpr4_vgpr5
.LBB10_50:
	v_mad_u64_u32 v[4:5], s[0:1], v12, s30, 0
	v_mov_b32_e32 v6, v5
	v_mad_u64_u32 v[6:7], s[0:1], v12, s31, v[6:7]
	v_mov_b32_e32 v5, v6
	v_lshlrev_b64 v[4:5], 4, v[4:5]
	v_add_co_u32_e32 v6, vcc, v15, v4
	v_addc_co_u32_e32 v7, vcc, v16, v5, vcc
	v_add_co_u32_e32 v4, vcc, 8, v6
	v_addc_co_u32_e32 v5, vcc, 0, v7, vcc
.LBB10_51:
	global_load_dwordx2 v[12:13], v[6:7], off
	global_load_dwordx2 v[16:17], v[4:5], off
	s_waitcnt vmcnt(1)
	v_cmp_neq_f64_e32 vcc, 0, v[12:13]
	s_waitcnt vmcnt(0)
	v_cmp_neq_f64_e64 s[0:1], 0, v[16:17]
	s_or_b64 vcc, vcc, s[0:1]
	v_addc_co_u32_e32 v0, vcc, 0, v0, vcc
.LBB10_52:
	s_or_b64 exec, exec, s[8:9]
.LBB10_53:
	s_or_b64 exec, exec, s[6:7]
	v_cmp_gt_i32_e32 vcc, s25, v28
	s_and_saveexec_b64 s[6:7], vcc
	s_cbranch_execz .LBB10_77
; %bb.54:
	v_ashrrev_i32_e32 v4, 31, v28
	v_mul_lo_u32 v6, v28, s31
	v_mul_lo_u32 v7, v4, s30
	v_mad_u64_u32 v[4:5], s[0:1], v28, s30, 0
	v_add3_u32 v5, v5, v6, v7
	v_lshlrev_b64 v[4:5], 4, v[4:5]
	v_add_co_u32_e32 v4, vcc, v9, v4
	v_addc_co_u32_e32 v5, vcc, v14, v5, vcc
	v_lshlrev_b64 v[6:7], 4, v[10:11]
	v_mov_b32_e32 v12, s29
	v_add_co_u32_e32 v15, vcc, s28, v6
	v_addc_co_u32_e32 v16, vcc, v12, v7, vcc
	v_cmp_gt_i32_e32 vcc, s26, v8
	s_and_saveexec_b64 s[8:9], vcc
	s_cbranch_execz .LBB10_58
; %bb.55:
	s_andn2_b64 vcc, exec, s[4:5]
	v_pk_mov_b32 v[6:7], v[4:5], v[4:5] op_sel:[0,1]
	s_cbranch_vccnz .LBB10_57
; %bb.56:
	v_mad_u64_u32 v[6:7], s[0:1], v8, s30, 0
	v_mov_b32_e32 v12, v7
	v_mad_u64_u32 v[12:13], s[0:1], v8, s31, v[12:13]
	v_mov_b32_e32 v7, v12
	v_lshlrev_b64 v[6:7], 4, v[6:7]
	v_add_co_u32_e32 v6, vcc, v15, v6
	v_addc_co_u32_e32 v7, vcc, v16, v7, vcc
	v_add_co_u32_e32 v6, vcc, 0x400, v6
	v_addc_co_u32_e32 v7, vcc, 0, v7, vcc
.LBB10_57:
	global_load_dwordx4 v[18:21], v[6:7], off
	s_waitcnt vmcnt(0)
	v_cmp_neq_f64_e32 vcc, 0, v[18:19]
	v_cmp_neq_f64_e64 s[0:1], 0, v[20:21]
	s_or_b64 vcc, vcc, s[0:1]
	v_addc_co_u32_e32 v1, vcc, 0, v1, vcc
.LBB10_58:
	s_or_b64 exec, exec, s[8:9]
	v_or_b32_e32 v17, 1, v8
	v_cmp_gt_i32_e32 vcc, s26, v17
	s_and_saveexec_b64 s[8:9], vcc
	s_cbranch_execz .LBB10_64
; %bb.59:
	s_andn2_b64 vcc, exec, s[2:3]
	s_cbranch_vccnz .LBB10_61
; %bb.60:
	v_add_co_u32_e32 v6, vcc, 16, v4
	v_addc_co_u32_e32 v7, vcc, 0, v5, vcc
	v_add_co_u32_e32 v12, vcc, 24, v4
	v_addc_co_u32_e32 v13, vcc, 0, v5, vcc
	s_cbranch_execz .LBB10_62
	s_branch .LBB10_63
.LBB10_61:
                                        ; implicit-def: $vgpr6_vgpr7
                                        ; implicit-def: $vgpr12_vgpr13
.LBB10_62:
	v_mad_u64_u32 v[6:7], s[0:1], v17, s30, 0
	v_mov_b32_e32 v12, v7
	v_mad_u64_u32 v[12:13], s[0:1], v17, s31, v[12:13]
	v_mov_b32_e32 v7, v12
	v_lshlrev_b64 v[6:7], 4, v[6:7]
	v_add_co_u32_e32 v12, vcc, v15, v6
	v_addc_co_u32_e32 v13, vcc, v16, v7, vcc
	v_add_co_u32_e32 v6, vcc, 0x400, v12
	v_addc_co_u32_e32 v7, vcc, 0, v13, vcc
	;; [unrolled: 2-line block ×3, first 2 shown]
.LBB10_63:
	global_load_dwordx2 v[18:19], v[6:7], off
	global_load_dwordx2 v[20:21], v[12:13], off
	s_waitcnt vmcnt(1)
	v_cmp_neq_f64_e32 vcc, 0, v[18:19]
	s_waitcnt vmcnt(0)
	v_cmp_neq_f64_e64 s[0:1], 0, v[20:21]
	s_or_b64 vcc, vcc, s[0:1]
	v_addc_co_u32_e32 v1, vcc, 0, v1, vcc
.LBB10_64:
	s_or_b64 exec, exec, s[8:9]
	v_or_b32_e32 v17, 2, v8
	v_cmp_gt_i32_e32 vcc, s26, v17
	s_and_saveexec_b64 s[8:9], vcc
	s_cbranch_execz .LBB10_70
; %bb.65:
	s_andn2_b64 vcc, exec, s[2:3]
	s_cbranch_vccnz .LBB10_67
; %bb.66:
	v_add_co_u32_e32 v6, vcc, 32, v4
	v_addc_co_u32_e32 v7, vcc, 0, v5, vcc
	v_add_co_u32_e32 v12, vcc, 40, v4
	v_addc_co_u32_e32 v13, vcc, 0, v5, vcc
	s_cbranch_execz .LBB10_68
	s_branch .LBB10_69
.LBB10_67:
                                        ; implicit-def: $vgpr6_vgpr7
                                        ; implicit-def: $vgpr12_vgpr13
.LBB10_68:
	v_mad_u64_u32 v[6:7], s[0:1], v17, s30, 0
	v_mov_b32_e32 v12, v7
	v_mad_u64_u32 v[12:13], s[0:1], v17, s31, v[12:13]
	v_mov_b32_e32 v7, v12
	v_lshlrev_b64 v[6:7], 4, v[6:7]
	v_add_co_u32_e32 v12, vcc, v15, v6
	v_addc_co_u32_e32 v13, vcc, v16, v7, vcc
	v_add_co_u32_e32 v6, vcc, 0x400, v12
	v_addc_co_u32_e32 v7, vcc, 0, v13, vcc
	;; [unrolled: 2-line block ×3, first 2 shown]
.LBB10_69:
	global_load_dwordx2 v[18:19], v[6:7], off
	global_load_dwordx2 v[20:21], v[12:13], off
	s_waitcnt vmcnt(1)
	v_cmp_neq_f64_e32 vcc, 0, v[18:19]
	s_waitcnt vmcnt(0)
	v_cmp_neq_f64_e64 s[0:1], 0, v[20:21]
	s_or_b64 vcc, vcc, s[0:1]
	v_addc_co_u32_e32 v1, vcc, 0, v1, vcc
.LBB10_70:
	s_or_b64 exec, exec, s[8:9]
	v_or_b32_e32 v12, 3, v8
	v_cmp_gt_i32_e32 vcc, s26, v12
	s_and_saveexec_b64 s[8:9], vcc
	s_cbranch_execz .LBB10_76
; %bb.71:
	s_andn2_b64 vcc, exec, s[2:3]
	s_cbranch_vccnz .LBB10_73
; %bb.72:
	v_add_co_u32_e32 v6, vcc, 48, v4
	v_addc_co_u32_e32 v7, vcc, 0, v5, vcc
	v_add_co_u32_e32 v4, vcc, 56, v4
	v_addc_co_u32_e32 v5, vcc, 0, v5, vcc
	s_cbranch_execz .LBB10_74
	s_branch .LBB10_75
.LBB10_73:
                                        ; implicit-def: $vgpr6_vgpr7
                                        ; implicit-def: $vgpr4_vgpr5
.LBB10_74:
	v_mad_u64_u32 v[4:5], s[0:1], v12, s30, 0
	v_mov_b32_e32 v6, v5
	v_mad_u64_u32 v[6:7], s[0:1], v12, s31, v[6:7]
	v_mov_b32_e32 v5, v6
	v_lshlrev_b64 v[4:5], 4, v[4:5]
	v_add_co_u32_e32 v4, vcc, v15, v4
	v_addc_co_u32_e32 v5, vcc, v16, v5, vcc
	v_add_co_u32_e32 v6, vcc, 0x400, v4
	v_addc_co_u32_e32 v7, vcc, 0, v5, vcc
	;; [unrolled: 2-line block ×3, first 2 shown]
.LBB10_75:
	global_load_dwordx2 v[12:13], v[6:7], off
	global_load_dwordx2 v[16:17], v[4:5], off
	s_waitcnt vmcnt(1)
	v_cmp_neq_f64_e32 vcc, 0, v[12:13]
	s_waitcnt vmcnt(0)
	v_cmp_neq_f64_e64 s[0:1], 0, v[16:17]
	s_or_b64 vcc, vcc, s[0:1]
	v_addc_co_u32_e32 v1, vcc, 0, v1, vcc
.LBB10_76:
	s_or_b64 exec, exec, s[8:9]
.LBB10_77:
	s_or_b64 exec, exec, s[6:7]
	v_or_b32_e32 v4, 0x80, v10
	v_cmp_gt_i32_e32 vcc, s25, v4
	s_and_saveexec_b64 s[6:7], vcc
	s_cbranch_execz .LBB10_101
; %bb.78:
	v_ashrrev_i32_e32 v5, 31, v4
	v_mul_lo_u32 v6, v4, s31
	v_mul_lo_u32 v7, v5, s30
	v_mad_u64_u32 v[4:5], s[0:1], v4, s30, 0
	v_add3_u32 v5, v5, v6, v7
	v_lshlrev_b64 v[4:5], 4, v[4:5]
	v_add_co_u32_e32 v4, vcc, v9, v4
	v_addc_co_u32_e32 v5, vcc, v14, v5, vcc
	v_lshlrev_b64 v[6:7], 4, v[10:11]
	v_mov_b32_e32 v12, s29
	v_add_co_u32_e32 v15, vcc, s28, v6
	v_addc_co_u32_e32 v16, vcc, v12, v7, vcc
	v_cmp_gt_i32_e32 vcc, s26, v8
	s_and_saveexec_b64 s[8:9], vcc
	s_cbranch_execz .LBB10_82
; %bb.79:
	s_andn2_b64 vcc, exec, s[4:5]
	v_pk_mov_b32 v[6:7], v[4:5], v[4:5] op_sel:[0,1]
	s_cbranch_vccnz .LBB10_81
; %bb.80:
	v_mad_u64_u32 v[6:7], s[0:1], v8, s30, 0
	v_mov_b32_e32 v12, v7
	v_mad_u64_u32 v[12:13], s[0:1], v8, s31, v[12:13]
	v_mov_b32_e32 v7, v12
	v_lshlrev_b64 v[6:7], 4, v[6:7]
	v_add_co_u32_e32 v6, vcc, v15, v6
	v_addc_co_u32_e32 v7, vcc, v16, v7, vcc
	v_add_co_u32_e32 v6, vcc, 0x800, v6
	v_addc_co_u32_e32 v7, vcc, 0, v7, vcc
.LBB10_81:
	global_load_dwordx4 v[18:21], v[6:7], off
	s_waitcnt vmcnt(0)
	v_cmp_neq_f64_e32 vcc, 0, v[18:19]
	v_cmp_neq_f64_e64 s[0:1], 0, v[20:21]
	s_or_b64 vcc, vcc, s[0:1]
	v_addc_co_u32_e32 v2, vcc, 0, v2, vcc
.LBB10_82:
	s_or_b64 exec, exec, s[8:9]
	v_or_b32_e32 v17, 1, v8
	v_cmp_gt_i32_e32 vcc, s26, v17
	s_and_saveexec_b64 s[8:9], vcc
	s_cbranch_execz .LBB10_88
; %bb.83:
	s_andn2_b64 vcc, exec, s[2:3]
	s_cbranch_vccnz .LBB10_85
; %bb.84:
	v_add_co_u32_e32 v6, vcc, 16, v4
	v_addc_co_u32_e32 v7, vcc, 0, v5, vcc
	v_add_co_u32_e32 v12, vcc, 24, v4
	v_addc_co_u32_e32 v13, vcc, 0, v5, vcc
	s_cbranch_execz .LBB10_86
	s_branch .LBB10_87
.LBB10_85:
                                        ; implicit-def: $vgpr6_vgpr7
                                        ; implicit-def: $vgpr12_vgpr13
.LBB10_86:
	v_mad_u64_u32 v[6:7], s[0:1], v17, s30, 0
	v_mov_b32_e32 v12, v7
	v_mad_u64_u32 v[12:13], s[0:1], v17, s31, v[12:13]
	v_mov_b32_e32 v7, v12
	v_lshlrev_b64 v[6:7], 4, v[6:7]
	v_add_co_u32_e32 v12, vcc, v15, v6
	v_addc_co_u32_e32 v13, vcc, v16, v7, vcc
	v_add_co_u32_e32 v6, vcc, 0x800, v12
	v_addc_co_u32_e32 v7, vcc, 0, v13, vcc
	;; [unrolled: 2-line block ×3, first 2 shown]
.LBB10_87:
	global_load_dwordx2 v[18:19], v[6:7], off
	global_load_dwordx2 v[20:21], v[12:13], off
	s_waitcnt vmcnt(1)
	v_cmp_neq_f64_e32 vcc, 0, v[18:19]
	s_waitcnt vmcnt(0)
	v_cmp_neq_f64_e64 s[0:1], 0, v[20:21]
	s_or_b64 vcc, vcc, s[0:1]
	v_addc_co_u32_e32 v2, vcc, 0, v2, vcc
.LBB10_88:
	s_or_b64 exec, exec, s[8:9]
	v_or_b32_e32 v17, 2, v8
	v_cmp_gt_i32_e32 vcc, s26, v17
	s_and_saveexec_b64 s[8:9], vcc
	s_cbranch_execz .LBB10_94
; %bb.89:
	s_andn2_b64 vcc, exec, s[2:3]
	s_cbranch_vccnz .LBB10_91
; %bb.90:
	v_add_co_u32_e32 v6, vcc, 32, v4
	v_addc_co_u32_e32 v7, vcc, 0, v5, vcc
	v_add_co_u32_e32 v12, vcc, 40, v4
	v_addc_co_u32_e32 v13, vcc, 0, v5, vcc
	s_cbranch_execz .LBB10_92
	s_branch .LBB10_93
.LBB10_91:
                                        ; implicit-def: $vgpr6_vgpr7
                                        ; implicit-def: $vgpr12_vgpr13
.LBB10_92:
	v_mad_u64_u32 v[6:7], s[0:1], v17, s30, 0
	v_mov_b32_e32 v12, v7
	v_mad_u64_u32 v[12:13], s[0:1], v17, s31, v[12:13]
	v_mov_b32_e32 v7, v12
	v_lshlrev_b64 v[6:7], 4, v[6:7]
	v_add_co_u32_e32 v12, vcc, v15, v6
	v_addc_co_u32_e32 v13, vcc, v16, v7, vcc
	v_add_co_u32_e32 v6, vcc, 0x800, v12
	v_addc_co_u32_e32 v7, vcc, 0, v13, vcc
	;; [unrolled: 2-line block ×3, first 2 shown]
.LBB10_93:
	global_load_dwordx2 v[18:19], v[6:7], off
	global_load_dwordx2 v[20:21], v[12:13], off
	s_waitcnt vmcnt(1)
	v_cmp_neq_f64_e32 vcc, 0, v[18:19]
	s_waitcnt vmcnt(0)
	v_cmp_neq_f64_e64 s[0:1], 0, v[20:21]
	s_or_b64 vcc, vcc, s[0:1]
	v_addc_co_u32_e32 v2, vcc, 0, v2, vcc
.LBB10_94:
	s_or_b64 exec, exec, s[8:9]
	v_or_b32_e32 v12, 3, v8
	v_cmp_gt_i32_e32 vcc, s26, v12
	s_and_saveexec_b64 s[8:9], vcc
	s_cbranch_execz .LBB10_100
; %bb.95:
	s_andn2_b64 vcc, exec, s[2:3]
	s_cbranch_vccnz .LBB10_97
; %bb.96:
	v_add_co_u32_e32 v6, vcc, 48, v4
	v_addc_co_u32_e32 v7, vcc, 0, v5, vcc
	v_add_co_u32_e32 v4, vcc, 56, v4
	v_addc_co_u32_e32 v5, vcc, 0, v5, vcc
	s_cbranch_execz .LBB10_98
	s_branch .LBB10_99
.LBB10_97:
                                        ; implicit-def: $vgpr6_vgpr7
                                        ; implicit-def: $vgpr4_vgpr5
.LBB10_98:
	v_mad_u64_u32 v[4:5], s[0:1], v12, s30, 0
	v_mov_b32_e32 v6, v5
	v_mad_u64_u32 v[6:7], s[0:1], v12, s31, v[6:7]
	v_mov_b32_e32 v5, v6
	v_lshlrev_b64 v[4:5], 4, v[4:5]
	v_add_co_u32_e32 v4, vcc, v15, v4
	v_addc_co_u32_e32 v5, vcc, v16, v5, vcc
	v_add_co_u32_e32 v6, vcc, 0x800, v4
	v_addc_co_u32_e32 v7, vcc, 0, v5, vcc
	v_add_co_u32_e32 v4, vcc, 0x808, v4
	v_addc_co_u32_e32 v5, vcc, 0, v5, vcc
.LBB10_99:
	global_load_dwordx2 v[12:13], v[6:7], off
	global_load_dwordx2 v[16:17], v[4:5], off
	s_waitcnt vmcnt(1)
	v_cmp_neq_f64_e32 vcc, 0, v[12:13]
	s_waitcnt vmcnt(0)
	v_cmp_neq_f64_e64 s[0:1], 0, v[16:17]
	s_or_b64 vcc, vcc, s[0:1]
	v_addc_co_u32_e32 v2, vcc, 0, v2, vcc
.LBB10_100:
	s_or_b64 exec, exec, s[8:9]
.LBB10_101:
	s_or_b64 exec, exec, s[6:7]
	v_or_b32_e32 v4, 0xc0, v10
	v_cmp_gt_i32_e32 vcc, s25, v4
	s_and_saveexec_b64 s[6:7], vcc
	s_cbranch_execz .LBB10_125
; %bb.102:
	v_ashrrev_i32_e32 v5, 31, v4
	v_mul_lo_u32 v6, v4, s31
	v_mul_lo_u32 v7, v5, s30
	v_mad_u64_u32 v[4:5], s[0:1], v4, s30, 0
	v_add3_u32 v5, v5, v6, v7
	v_lshlrev_b64 v[4:5], 4, v[4:5]
	v_add_co_u32_e32 v4, vcc, v9, v4
	v_addc_co_u32_e32 v5, vcc, v14, v5, vcc
	v_lshlrev_b64 v[6:7], 4, v[10:11]
	v_mov_b32_e32 v10, s29
	v_add_co_u32_e32 v9, vcc, s28, v6
	v_addc_co_u32_e32 v12, vcc, v10, v7, vcc
	v_cmp_gt_i32_e32 vcc, s26, v8
	s_and_saveexec_b64 s[8:9], vcc
	s_cbranch_execz .LBB10_106
; %bb.103:
	s_andn2_b64 vcc, exec, s[4:5]
	v_pk_mov_b32 v[6:7], v[4:5], v[4:5] op_sel:[0,1]
	s_cbranch_vccnz .LBB10_105
; %bb.104:
	v_mad_u64_u32 v[6:7], s[0:1], v8, s30, 0
	v_mov_b32_e32 v10, v7
	v_mad_u64_u32 v[10:11], s[0:1], v8, s31, v[10:11]
	v_mov_b32_e32 v7, v10
	v_lshlrev_b64 v[6:7], 4, v[6:7]
	v_add_co_u32_e32 v6, vcc, v9, v6
	v_addc_co_u32_e32 v7, vcc, v12, v7, vcc
	v_add_co_u32_e32 v6, vcc, 0xc00, v6
	v_addc_co_u32_e32 v7, vcc, 0, v7, vcc
.LBB10_105:
	global_load_dwordx4 v[14:17], v[6:7], off
	s_waitcnt vmcnt(0)
	v_cmp_neq_f64_e32 vcc, 0, v[14:15]
	v_cmp_neq_f64_e64 s[0:1], 0, v[16:17]
	s_or_b64 vcc, vcc, s[0:1]
	v_addc_co_u32_e32 v3, vcc, 0, v3, vcc
.LBB10_106:
	s_or_b64 exec, exec, s[8:9]
	v_or_b32_e32 v13, 1, v8
	v_cndmask_b32_e64 v6, 0, 1, s[2:3]
	v_cmp_gt_i32_e32 vcc, s26, v13
	v_cmp_ne_u32_e64 s[0:1], 1, v6
	s_and_saveexec_b64 s[4:5], vcc
	s_cbranch_execz .LBB10_112
; %bb.107:
	s_and_b64 vcc, exec, s[0:1]
	s_cbranch_vccnz .LBB10_109
; %bb.108:
	v_add_co_u32_e32 v6, vcc, 16, v4
	v_addc_co_u32_e32 v7, vcc, 0, v5, vcc
	v_add_co_u32_e32 v10, vcc, 24, v4
	v_addc_co_u32_e32 v11, vcc, 0, v5, vcc
	s_cbranch_execz .LBB10_110
	s_branch .LBB10_111
.LBB10_109:
                                        ; implicit-def: $vgpr6_vgpr7
                                        ; implicit-def: $vgpr10_vgpr11
.LBB10_110:
	v_mad_u64_u32 v[6:7], s[2:3], v13, s30, 0
	v_mov_b32_e32 v10, v7
	v_mad_u64_u32 v[10:11], s[2:3], v13, s31, v[10:11]
	v_mov_b32_e32 v7, v10
	v_lshlrev_b64 v[6:7], 4, v[6:7]
	v_add_co_u32_e32 v10, vcc, v9, v6
	v_addc_co_u32_e32 v11, vcc, v12, v7, vcc
	v_add_co_u32_e32 v6, vcc, 0xc00, v10
	v_addc_co_u32_e32 v7, vcc, 0, v11, vcc
	;; [unrolled: 2-line block ×3, first 2 shown]
.LBB10_111:
	global_load_dwordx2 v[14:15], v[6:7], off
	global_load_dwordx2 v[16:17], v[10:11], off
	s_waitcnt vmcnt(1)
	v_cmp_neq_f64_e32 vcc, 0, v[14:15]
	s_waitcnt vmcnt(0)
	v_cmp_neq_f64_e64 s[2:3], 0, v[16:17]
	s_or_b64 vcc, vcc, s[2:3]
	v_addc_co_u32_e32 v3, vcc, 0, v3, vcc
.LBB10_112:
	s_or_b64 exec, exec, s[4:5]
	v_or_b32_e32 v13, 2, v8
	v_cmp_gt_i32_e32 vcc, s26, v13
	s_and_saveexec_b64 s[4:5], vcc
	s_cbranch_execz .LBB10_118
; %bb.113:
	s_and_b64 vcc, exec, s[0:1]
	s_cbranch_vccnz .LBB10_115
; %bb.114:
	v_add_co_u32_e32 v6, vcc, 32, v4
	v_addc_co_u32_e32 v7, vcc, 0, v5, vcc
	v_add_co_u32_e32 v10, vcc, 40, v4
	v_addc_co_u32_e32 v11, vcc, 0, v5, vcc
	s_cbranch_execz .LBB10_116
	s_branch .LBB10_117
.LBB10_115:
                                        ; implicit-def: $vgpr6_vgpr7
                                        ; implicit-def: $vgpr10_vgpr11
.LBB10_116:
	v_mad_u64_u32 v[6:7], s[2:3], v13, s30, 0
	v_mov_b32_e32 v10, v7
	v_mad_u64_u32 v[10:11], s[2:3], v13, s31, v[10:11]
	v_mov_b32_e32 v7, v10
	v_lshlrev_b64 v[6:7], 4, v[6:7]
	v_add_co_u32_e32 v10, vcc, v9, v6
	v_addc_co_u32_e32 v11, vcc, v12, v7, vcc
	v_add_co_u32_e32 v6, vcc, 0xc00, v10
	v_addc_co_u32_e32 v7, vcc, 0, v11, vcc
	;; [unrolled: 2-line block ×3, first 2 shown]
.LBB10_117:
	global_load_dwordx2 v[14:15], v[6:7], off
	global_load_dwordx2 v[16:17], v[10:11], off
	s_waitcnt vmcnt(1)
	v_cmp_neq_f64_e32 vcc, 0, v[14:15]
	s_waitcnt vmcnt(0)
	v_cmp_neq_f64_e64 s[2:3], 0, v[16:17]
	s_or_b64 vcc, vcc, s[2:3]
	v_addc_co_u32_e32 v3, vcc, 0, v3, vcc
.LBB10_118:
	s_or_b64 exec, exec, s[4:5]
	v_or_b32_e32 v8, 3, v8
	v_cmp_gt_i32_e32 vcc, s26, v8
	s_and_saveexec_b64 s[2:3], vcc
	s_cbranch_execz .LBB10_124
; %bb.119:
	s_and_b64 vcc, exec, s[0:1]
	s_cbranch_vccnz .LBB10_121
; %bb.120:
	v_add_co_u32_e32 v6, vcc, 48, v4
	v_addc_co_u32_e32 v7, vcc, 0, v5, vcc
	v_add_co_u32_e32 v4, vcc, 56, v4
	v_addc_co_u32_e32 v5, vcc, 0, v5, vcc
	s_cbranch_execz .LBB10_122
	s_branch .LBB10_123
.LBB10_121:
                                        ; implicit-def: $vgpr6_vgpr7
                                        ; implicit-def: $vgpr4_vgpr5
.LBB10_122:
	v_mad_u64_u32 v[4:5], s[0:1], v8, s30, 0
	v_mov_b32_e32 v6, v5
	v_mad_u64_u32 v[6:7], s[0:1], v8, s31, v[6:7]
	v_mov_b32_e32 v5, v6
	v_lshlrev_b64 v[4:5], 4, v[4:5]
	v_add_co_u32_e32 v4, vcc, v9, v4
	v_addc_co_u32_e32 v5, vcc, v12, v5, vcc
	v_add_co_u32_e32 v6, vcc, 0xc00, v4
	v_addc_co_u32_e32 v7, vcc, 0, v5, vcc
	;; [unrolled: 2-line block ×3, first 2 shown]
.LBB10_123:
	global_load_dwordx2 v[8:9], v[6:7], off
	global_load_dwordx2 v[10:11], v[4:5], off
	s_waitcnt vmcnt(1)
	v_cmp_neq_f64_e32 vcc, 0, v[8:9]
	s_waitcnt vmcnt(0)
	v_cmp_neq_f64_e64 s[0:1], 0, v[10:11]
	s_or_b64 vcc, vcc, s[0:1]
	v_addc_co_u32_e32 v3, vcc, 0, v3, vcc
.LBB10_124:
	s_or_b64 exec, exec, s[2:3]
.LBB10_125:
	s_or_b64 exec, exec, s[6:7]
.LBB10_126:
	v_lshlrev_b32_e32 v4, 2, v25
	s_mov_b32 s0, 0x1fffff00
	v_and_or_b32 v5, v4, s0, v27
	s_movk_i32 s0, 0x100
	v_lshlrev_b32_e32 v5, 2, v5
	v_cmp_gt_u32_e32 vcc, s0, v25
	ds_write2st64_b32 v5, v0, v1 offset1:1
	ds_write2st64_b32 v5, v2, v3 offset0:2 offset1:3
	s_waitcnt lgkmcnt(0)
	s_barrier
	s_and_saveexec_b64 s[0:1], vcc
	s_cbranch_execz .LBB10_129
; %bb.127:
	ds_read2st64_b32 v[2:3], v4 offset1:4
	ds_read2st64_b32 v[6:7], v4 offset0:8 offset1:12
	ds_read2st64_b32 v[8:9], v4 offset0:16 offset1:20
	;; [unrolled: 1-line block ×3, first 2 shown]
	v_add_u32_e32 v0, s27, v25
	s_waitcnt lgkmcnt(3)
	v_add_u32_e32 v1, v2, v3
	s_waitcnt lgkmcnt(2)
	v_add3_u32 v1, v1, v6, v7
	s_waitcnt lgkmcnt(1)
	v_add3_u32 v1, v1, v8, v9
	ds_read2st64_b32 v[2:3], v4 offset0:32 offset1:36
	ds_read2st64_b32 v[6:7], v4 offset0:40 offset1:44
	;; [unrolled: 1-line block ×4, first 2 shown]
	s_waitcnt lgkmcnt(4)
	v_add3_u32 v1, v1, v10, v11
	s_waitcnt lgkmcnt(3)
	v_add3_u32 v1, v1, v2, v3
	;; [unrolled: 2-line block ×5, first 2 shown]
	v_cmp_gt_i32_e32 vcc, s25, v0
	ds_write_b32 v4, v2
	s_and_b64 exec, exec, vcc
	s_cbranch_execz .LBB10_129
; %bb.128:
	v_ashrrev_i32_e32 v1, 31, v0
	v_lshlrev_b64 v[0:1], 2, v[0:1]
	v_mov_b32_e32 v3, s35
	v_add_co_u32_e32 v0, vcc, s34, v0
	v_addc_co_u32_e32 v1, vcc, v3, v1, vcc
	global_store_dword v[0:1], v2, off
.LBB10_129:
	s_endpgm
	.section	.rodata,"a",@progbits
	.p2align	6, 0x0
	.amdhsa_kernel _ZN9rocsparseL14nnz_kernel_rowILi64ELi16Eii21rocsparse_complex_numIdEEEv16rocsparse_order_T2_S4_PKT3_lPT1_
		.amdhsa_group_segment_fixed_size 16384
		.amdhsa_private_segment_fixed_size 0
		.amdhsa_kernarg_size 296
		.amdhsa_user_sgpr_count 6
		.amdhsa_user_sgpr_private_segment_buffer 1
		.amdhsa_user_sgpr_dispatch_ptr 0
		.amdhsa_user_sgpr_queue_ptr 0
		.amdhsa_user_sgpr_kernarg_segment_ptr 1
		.amdhsa_user_sgpr_dispatch_id 0
		.amdhsa_user_sgpr_flat_scratch_init 0
		.amdhsa_user_sgpr_kernarg_preload_length 0
		.amdhsa_user_sgpr_kernarg_preload_offset 0
		.amdhsa_user_sgpr_private_segment_size 0
		.amdhsa_uses_dynamic_stack 0
		.amdhsa_system_sgpr_private_segment_wavefront_offset 0
		.amdhsa_system_sgpr_workgroup_id_x 1
		.amdhsa_system_sgpr_workgroup_id_y 0
		.amdhsa_system_sgpr_workgroup_id_z 0
		.amdhsa_system_sgpr_workgroup_info 0
		.amdhsa_system_vgpr_workitem_id 1
		.amdhsa_next_free_vgpr 46
		.amdhsa_next_free_sgpr 46
		.amdhsa_accum_offset 48
		.amdhsa_reserve_vcc 1
		.amdhsa_reserve_flat_scratch 0
		.amdhsa_float_round_mode_32 0
		.amdhsa_float_round_mode_16_64 0
		.amdhsa_float_denorm_mode_32 3
		.amdhsa_float_denorm_mode_16_64 3
		.amdhsa_dx10_clamp 1
		.amdhsa_ieee_mode 1
		.amdhsa_fp16_overflow 0
		.amdhsa_tg_split 0
		.amdhsa_exception_fp_ieee_invalid_op 0
		.amdhsa_exception_fp_denorm_src 0
		.amdhsa_exception_fp_ieee_div_zero 0
		.amdhsa_exception_fp_ieee_overflow 0
		.amdhsa_exception_fp_ieee_underflow 0
		.amdhsa_exception_fp_ieee_inexact 0
		.amdhsa_exception_int_div_zero 0
	.end_amdhsa_kernel
	.section	.text._ZN9rocsparseL14nnz_kernel_rowILi64ELi16Eii21rocsparse_complex_numIdEEEv16rocsparse_order_T2_S4_PKT3_lPT1_,"axG",@progbits,_ZN9rocsparseL14nnz_kernel_rowILi64ELi16Eii21rocsparse_complex_numIdEEEv16rocsparse_order_T2_S4_PKT3_lPT1_,comdat
.Lfunc_end10:
	.size	_ZN9rocsparseL14nnz_kernel_rowILi64ELi16Eii21rocsparse_complex_numIdEEEv16rocsparse_order_T2_S4_PKT3_lPT1_, .Lfunc_end10-_ZN9rocsparseL14nnz_kernel_rowILi64ELi16Eii21rocsparse_complex_numIdEEEv16rocsparse_order_T2_S4_PKT3_lPT1_
                                        ; -- End function
	.section	.AMDGPU.csdata,"",@progbits
; Kernel info:
; codeLenInByte = 5588
; NumSgprs: 50
; NumVgprs: 46
; NumAgprs: 0
; TotalNumVgprs: 46
; ScratchSize: 0
; MemoryBound: 0
; FloatMode: 240
; IeeeMode: 1
; LDSByteSize: 16384 bytes/workgroup (compile time only)
; SGPRBlocks: 6
; VGPRBlocks: 5
; NumSGPRsForWavesPerEU: 50
; NumVGPRsForWavesPerEU: 46
; AccumOffset: 48
; Occupancy: 8
; WaveLimiterHint : 0
; COMPUTE_PGM_RSRC2:SCRATCH_EN: 0
; COMPUTE_PGM_RSRC2:USER_SGPR: 6
; COMPUTE_PGM_RSRC2:TRAP_HANDLER: 0
; COMPUTE_PGM_RSRC2:TGID_X_EN: 1
; COMPUTE_PGM_RSRC2:TGID_Y_EN: 0
; COMPUTE_PGM_RSRC2:TGID_Z_EN: 0
; COMPUTE_PGM_RSRC2:TIDIG_COMP_CNT: 1
; COMPUTE_PGM_RSRC3_GFX90A:ACCUM_OFFSET: 11
; COMPUTE_PGM_RSRC3_GFX90A:TG_SPLIT: 0
	.section	.text._ZN9rocsparseL14nnz_kernel_colILi256Eii21rocsparse_complex_numIdEEEv16rocsparse_order_T1_S4_PKT2_lPT0_,"axG",@progbits,_ZN9rocsparseL14nnz_kernel_colILi256Eii21rocsparse_complex_numIdEEEv16rocsparse_order_T1_S4_PKT2_lPT0_,comdat
	.globl	_ZN9rocsparseL14nnz_kernel_colILi256Eii21rocsparse_complex_numIdEEEv16rocsparse_order_T1_S4_PKT2_lPT0_ ; -- Begin function _ZN9rocsparseL14nnz_kernel_colILi256Eii21rocsparse_complex_numIdEEEv16rocsparse_order_T1_S4_PKT2_lPT0_
	.p2align	8
	.type	_ZN9rocsparseL14nnz_kernel_colILi256Eii21rocsparse_complex_numIdEEEv16rocsparse_order_T1_S4_PKT2_lPT0_,@function
_ZN9rocsparseL14nnz_kernel_colILi256Eii21rocsparse_complex_numIdEEEv16rocsparse_order_T1_S4_PKT2_lPT0_: ; @_ZN9rocsparseL14nnz_kernel_colILi256Eii21rocsparse_complex_numIdEEEv16rocsparse_order_T1_S4_PKT2_lPT0_
; %bb.0:
	s_load_dwordx2 s[2:3], s[4:5], 0x0
	s_load_dwordx4 s[8:11], s[4:5], 0x10
	s_waitcnt lgkmcnt(0)
	s_ashr_i32 s0, s3, 31
	s_lshr_b32 s0, s0, 24
	s_add_i32 s0, s3, s0
	s_and_b32 s12, s0, 0xffffff00
	s_cmp_eq_u32 s2, 1
	s_cbranch_scc1 .LBB11_6
; %bb.1:
	s_cmpk_lt_i32 s3, 0x100
	v_mov_b32_e32 v1, 0
	s_cbranch_scc1 .LBB11_7
; %bb.2:
	v_mad_u64_u32 v[2:3], s[0:1], s10, v0, 0
	v_mov_b32_e32 v4, v3
	s_ashr_i32 s7, s6, 31
	v_mad_u64_u32 v[4:5], s[0:1], s11, v0, v[4:5]
	s_lshl_b64 s[0:1], s[6:7], 4
	v_mov_b32_e32 v3, v4
	s_add_u32 s0, s8, s0
	v_lshlrev_b64 v[2:3], 4, v[2:3]
	s_addc_u32 s1, s9, s1
	v_mov_b32_e32 v1, s1
	v_add_co_u32_e32 v2, vcc, s0, v2
	v_addc_co_u32_e32 v1, vcc, v1, v3, vcc
	v_add_co_u32_e32 v2, vcc, 8, v2
	s_lshl_b64 s[14:15], s[10:11], 12
	v_addc_co_u32_e32 v3, vcc, 0, v1, vcc
	s_mov_b32 s2, 0
	v_mov_b32_e32 v1, 0
	v_mov_b32_e32 v4, s15
	s_branch .LBB11_4
.LBB11_3:                               ;   in Loop: Header=BB11_4 Depth=1
	s_or_b64 exec, exec, s[16:17]
	s_addk_i32 s2, 0x100
	v_add_co_u32_e32 v2, vcc, s14, v2
	s_cmp_ge_i32 s2, s12
	v_addc_co_u32_e32 v3, vcc, v3, v4, vcc
	s_cbranch_scc1 .LBB11_7
.LBB11_4:                               ; =>This Inner Loop Header: Depth=1
	v_add_u32_e32 v5, s2, v0
	v_cmp_gt_i32_e32 vcc, s3, v5
	s_and_saveexec_b64 s[16:17], vcc
	s_cbranch_execz .LBB11_3
; %bb.5:                                ;   in Loop: Header=BB11_4 Depth=1
	global_load_dwordx4 v[6:9], v[2:3], off offset:-8
	s_waitcnt vmcnt(0)
	v_cmp_neq_f64_e32 vcc, 0, v[6:7]
	v_cmp_neq_f64_e64 s[0:1], 0, v[8:9]
	s_or_b64 vcc, vcc, s[0:1]
	v_addc_co_u32_e32 v1, vcc, 0, v1, vcc
	s_branch .LBB11_3
.LBB11_6:
	s_mov_b64 s[14:15], 0
                                        ; implicit-def: $vgpr1
                                        ; implicit-def: $vgpr2_vgpr3
	s_cbranch_execnz .LBB11_10
	s_branch .LBB11_16
.LBB11_7:
	v_add_u32_e32 v4, s12, v0
	v_cmp_gt_i32_e32 vcc, s3, v4
	s_mov_b64 s[0:1], 0
	s_mov_b64 s[14:15], 0
                                        ; implicit-def: $vgpr2_vgpr3
	s_and_saveexec_b64 s[16:17], vcc
	s_xor_b64 s[16:17], exec, s[16:17]
	s_cbranch_execz .LBB11_9
; %bb.8:
	v_ashrrev_i32_e32 v2, 31, v4
	s_ashr_i32 s7, s6, 31
	v_mul_lo_u32 v6, v2, s10
	v_mad_u64_u32 v[2:3], s[18:19], v4, s10, 0
	v_mul_lo_u32 v5, v4, s11
	s_lshl_b64 s[18:19], s[6:7], 4
	v_add3_u32 v3, v3, v5, v6
	s_add_u32 s2, s18, s8
	v_lshlrev_b64 v[2:3], 4, v[2:3]
	s_addc_u32 s7, s19, s9
	v_mov_b32_e32 v4, s7
	v_add_co_u32_e32 v2, vcc, s2, v2
	s_mov_b64 s[14:15], exec
	v_addc_co_u32_e32 v3, vcc, v4, v3, vcc
.LBB11_9:
	s_or_b64 exec, exec, s[16:17]
	s_and_b64 vcc, exec, s[0:1]
	s_cbranch_vccz .LBB11_16
.LBB11_10:
	s_ashr_i32 s0, s6, 31
	s_mul_i32 s1, s6, s11
	s_mul_hi_u32 s2, s6, s10
	s_add_i32 s1, s2, s1
	s_mul_i32 s0, s0, s10
	v_cmp_gt_i32_e32 vcc, s3, v0
	s_add_i32 s11, s1, s0
	v_cndmask_b32_e32 v2, 0, v0, vcc
	s_mul_i32 s10, s6, s10
	s_mov_b32 s2, 0
	v_mov_b32_e32 v1, 0
	s_cmpk_lt_i32 s3, 0x100
	v_lshlrev_b32_e32 v4, 4, v2
	s_cbranch_scc1 .LBB11_13
; %bb.11:
	s_lshl_b64 s[0:1], s[10:11], 4
	s_add_u32 s0, s8, s0
	s_addc_u32 s1, s9, s1
	v_mov_b32_e32 v1, s1
	v_add_co_u32_e32 v2, vcc, s0, v4
	v_addc_co_u32_e32 v1, vcc, 0, v1, vcc
	v_add_co_u32_e32 v2, vcc, 8, v2
	v_addc_co_u32_e32 v3, vcc, 0, v1, vcc
	v_mov_b32_e32 v1, 0
.LBB11_12:                              ; =>This Inner Loop Header: Depth=1
	global_load_dwordx4 v[6:9], v[2:3], off offset:-8
	v_add_co_u32_e32 v2, vcc, 0x1000, v2
	v_addc_co_u32_e32 v3, vcc, 0, v3, vcc
	s_addk_i32 s2, 0x100
	s_waitcnt vmcnt(0)
	v_cmp_neq_f64_e32 vcc, 0, v[6:7]
	v_cmp_neq_f64_e64 s[0:1], 0, v[8:9]
	s_or_b64 vcc, vcc, s[0:1]
	s_cmp_ge_i32 s2, s12
	v_addc_co_u32_e32 v1, vcc, 0, v1, vcc
	s_cbranch_scc0 .LBB11_12
.LBB11_13:
	v_add_u32_e32 v2, s12, v0
	v_cmp_gt_i32_e32 vcc, s3, v2
                                        ; implicit-def: $vgpr2_vgpr3
	s_and_saveexec_b64 s[0:1], vcc
; %bb.14:
	s_lshl_b64 s[10:11], s[10:11], 4
	s_add_u32 s2, s8, s10
	s_addc_u32 s7, s9, s11
	s_ashr_i32 s13, s12, 31
	s_lshl_b64 s[8:9], s[12:13], 4
	s_add_u32 s2, s8, s2
	s_addc_u32 s7, s9, s7
	v_mov_b32_e32 v3, s7
	v_add_co_u32_e32 v2, vcc, s2, v4
	v_addc_co_u32_e32 v3, vcc, 0, v3, vcc
	s_or_b64 s[14:15], s[14:15], exec
; %bb.15:
	s_or_b64 exec, exec, s[0:1]
.LBB11_16:
	s_and_saveexec_b64 s[8:9], s[14:15]
	s_cbranch_execz .LBB11_18
; %bb.17:
	global_load_dwordx4 v[2:5], v[2:3], off
	s_waitcnt vmcnt(0)
	v_cmp_neq_f64_e32 vcc, 0, v[2:3]
	v_cmp_neq_f64_e64 s[0:1], 0, v[4:5]
	s_or_b64 vcc, vcc, s[0:1]
	v_addc_co_u32_e32 v1, vcc, 0, v1, vcc
.LBB11_18:
	s_or_b64 exec, exec, s[8:9]
	v_lshlrev_b32_e32 v3, 2, v0
	s_cmpk_lt_i32 s3, 0x100
	s_mov_b64 s[0:1], -1
	v_cmp_eq_u32_e32 vcc, 0, v0
	ds_write_b32 v3, v1
	s_waitcnt lgkmcnt(0)
	s_cbranch_scc1 .LBB11_22
; %bb.19:
	s_and_b64 vcc, exec, s[0:1]
	s_cbranch_vccnz .LBB11_37
.LBB11_20:
	v_cmp_eq_u32_e32 vcc, 0, v0
	s_and_saveexec_b64 s[0:1], vcc
	s_cbranch_execnz .LBB11_54
.LBB11_21:
	s_endpgm
.LBB11_22:
	s_cmp_gt_i32 s3, 1
	s_cselect_b64 s[0:1], -1, 0
	s_mov_b32 s2, 1
	s_and_b64 s[8:9], vcc, s[0:1]
	s_barrier
	s_and_saveexec_b64 s[0:1], s[8:9]
	s_cbranch_execz .LBB11_36
; %bb.23:
	v_mov_b32_e32 v1, 0
	ds_read_b32 v2, v1
	s_cmp_lt_u32 s3, 5
	s_cbranch_scc1 .LBB11_28
; %bb.24:
	s_add_i32 s7, s3, -5
	s_lshr_b32 s2, s7, 2
	s_add_i32 s2, s2, 1
	s_mov_b32 s8, 0
	s_cmp_lt_u32 s7, 28
	s_cbranch_scc1 .LBB11_29
; %bb.25:
	s_and_b32 s7, s2, 0x7ffffff8
	s_mov_b32 s9, 4
	v_mov_b32_e32 v1, 0
	v_mov_b32_e32 v4, 0
	;; [unrolled: 1-line block ×3, first 2 shown]
.LBB11_26:                              ; =>This Inner Loop Header: Depth=1
	v_mov_b32_e32 v36, s9
	ds_read2_b32 v[6:7], v36 offset1:1
	ds_read2_b32 v[8:9], v36 offset0:2 offset1:3
	ds_read2_b32 v[10:11], v36 offset0:4 offset1:5
	;; [unrolled: 1-line block ×15, first 2 shown]
	s_waitcnt lgkmcnt(14)
	v_add_u32_e32 v2, v2, v6
	v_add_u32_e32 v1, v1, v7
	;; [unrolled: 1-line block ×4, first 2 shown]
	s_waitcnt lgkmcnt(13)
	v_add_u32_e32 v1, v1, v11
	v_add_u32_e32 v2, v2, v10
	s_waitcnt lgkmcnt(12)
	v_add_u32_e32 v5, v5, v13
	v_add_u32_e32 v4, v4, v12
	s_waitcnt lgkmcnt(11)
	v_add_u32_e32 v2, v2, v14
	v_add_u32_e32 v1, v1, v15
	s_waitcnt lgkmcnt(10)
	v_add_u32_e32 v4, v4, v16
	v_add_u32_e32 v5, v5, v17
	s_waitcnt lgkmcnt(9)
	v_add_u32_e32 v1, v1, v19
	v_add_u32_e32 v2, v2, v18
	s_waitcnt lgkmcnt(8)
	v_add_u32_e32 v5, v5, v21
	v_add_u32_e32 v4, v4, v20
	s_waitcnt lgkmcnt(7)
	v_add_u32_e32 v2, v2, v22
	v_add_u32_e32 v1, v1, v23
	s_waitcnt lgkmcnt(6)
	v_add_u32_e32 v4, v4, v24
	v_add_u32_e32 v5, v5, v25
	s_waitcnt lgkmcnt(5)
	v_add_u32_e32 v1, v1, v27
	v_add_u32_e32 v2, v2, v26
	s_waitcnt lgkmcnt(4)
	v_add_u32_e32 v5, v5, v29
	v_add_u32_e32 v4, v4, v28
	s_add_i32 s8, s8, 32
	s_addk_i32 s9, 0x80
	s_add_i32 s7, s7, -8
	s_waitcnt lgkmcnt(3)
	v_add_u32_e32 v2, v2, v30
	v_add_u32_e32 v1, v1, v31
	s_waitcnt lgkmcnt(2)
	v_add_u32_e32 v4, v4, v32
	v_add_u32_e32 v5, v5, v33
	s_cmp_lg_u32 s7, 0
	s_waitcnt lgkmcnt(1)
	v_add_u32_e32 v1, v1, v35
	v_add_u32_e32 v2, v2, v34
	s_waitcnt lgkmcnt(0)
	v_add_u32_e32 v5, v5, v37
	v_add_u32_e32 v4, v4, v36
	s_cbranch_scc1 .LBB11_26
; %bb.27:
	s_and_b32 s2, s2, 7
	s_cmp_eq_u32 s2, 0
	s_cbranch_scc0 .LBB11_30
	s_branch .LBB11_32
.LBB11_28:
	s_cbranch_execnz .LBB11_33
	s_branch .LBB11_35
.LBB11_29:
	s_mov_b32 s9, s8
	v_pk_mov_b32 v[4:5], s[8:9], s[8:9] op_sel:[0,1]
	s_and_b32 s2, s2, 7
	s_cmp_eq_u32 s2, 0
	s_cbranch_scc1 .LBB11_32
.LBB11_30:
	s_lshl_b32 s7, s8, 2
	s_add_i32 s7, s7, 4
.LBB11_31:                              ; =>This Inner Loop Header: Depth=1
	v_mov_b32_e32 v8, s7
	ds_read2_b32 v[6:7], v8 offset1:1
	ds_read2_b32 v[8:9], v8 offset0:2 offset1:3
	s_add_i32 s7, s7, 16
	s_add_i32 s2, s2, -1
	s_cmp_lg_u32 s2, 0
	s_waitcnt lgkmcnt(1)
	v_add_u32_e32 v1, v1, v7
	v_add_u32_e32 v2, v2, v6
	s_waitcnt lgkmcnt(0)
	v_add_u32_e32 v5, v5, v9
	v_add_u32_e32 v4, v4, v8
	s_cbranch_scc1 .LBB11_31
.LBB11_32:
	s_add_i32 s7, s3, -1
	s_and_b32 s8, s7, -4
	s_or_b32 s2, s8, 1
	v_add_u32_e32 v1, v5, v1
	s_waitcnt lgkmcnt(0)
	v_add_u32_e32 v2, v4, v2
	s_cmp_lg_u32 s7, s8
	v_add_u32_e32 v2, v2, v1
	s_cselect_b64 s[8:9], -1, 0
	s_and_b64 vcc, exec, s[8:9]
	s_cbranch_vccz .LBB11_35
.LBB11_33:
	s_sub_i32 s3, s3, s2
	s_lshl_b32 s2, s2, 2
.LBB11_34:                              ; =>This Inner Loop Header: Depth=1
	v_mov_b32_e32 v1, s2
	ds_read_b32 v1, v1
	s_add_i32 s3, s3, -1
	s_add_i32 s2, s2, 4
	s_cmp_lg_u32 s3, 0
	s_waitcnt lgkmcnt(0)
	v_add_u32_e32 v2, v2, v1
	s_cbranch_scc1 .LBB11_34
.LBB11_35:
	v_mov_b32_e32 v1, 0
	s_waitcnt lgkmcnt(0)
	ds_write_b32 v1, v2
.LBB11_36:
	s_or_b64 exec, exec, s[0:1]
	s_waitcnt lgkmcnt(0)
	s_barrier
	s_branch .LBB11_20
.LBB11_37:
	s_movk_i32 s0, 0x80
	v_cmp_gt_u32_e32 vcc, s0, v0
	s_barrier
	s_and_saveexec_b64 s[0:1], vcc
	s_cbranch_execz .LBB11_39
; %bb.38:
	ds_read2st64_b32 v[4:5], v3 offset1:2
	s_waitcnt lgkmcnt(0)
	v_add_u32_e32 v1, v4, v5
	ds_write_b32 v3, v1
.LBB11_39:
	s_or_b64 exec, exec, s[0:1]
	v_cmp_gt_u32_e32 vcc, 64, v0
	s_waitcnt lgkmcnt(0)
	s_barrier
	s_and_saveexec_b64 s[0:1], vcc
	s_cbranch_execz .LBB11_41
; %bb.40:
	ds_read2st64_b32 v[4:5], v3 offset1:1
	s_waitcnt lgkmcnt(0)
	v_add_u32_e32 v1, v4, v5
	ds_write_b32 v3, v1
.LBB11_41:
	s_or_b64 exec, exec, s[0:1]
	v_cmp_gt_u32_e32 vcc, 32, v0
	s_waitcnt lgkmcnt(0)
	s_barrier
	s_and_saveexec_b64 s[0:1], vcc
	s_cbranch_execz .LBB11_43
; %bb.42:
	ds_read2_b32 v[4:5], v3 offset1:32
	s_waitcnt lgkmcnt(0)
	v_add_u32_e32 v1, v4, v5
	ds_write_b32 v3, v1
.LBB11_43:
	s_or_b64 exec, exec, s[0:1]
	v_cmp_gt_u32_e32 vcc, 16, v0
	s_waitcnt lgkmcnt(0)
	s_barrier
	s_and_saveexec_b64 s[0:1], vcc
	s_cbranch_execz .LBB11_45
; %bb.44:
	ds_read2_b32 v[4:5], v3 offset1:16
	s_waitcnt lgkmcnt(0)
	v_add_u32_e32 v1, v4, v5
	ds_write_b32 v3, v1
.LBB11_45:
	;; [unrolled: 12-line block ×5, first 2 shown]
	s_or_b64 exec, exec, s[0:1]
	v_cmp_eq_u32_e32 vcc, 0, v0
	s_waitcnt lgkmcnt(0)
	s_barrier
	s_and_saveexec_b64 s[0:1], vcc
	s_cbranch_execz .LBB11_53
; %bb.52:
	v_mov_b32_e32 v1, 0
	ds_read_b64 v[2:3], v1
	s_waitcnt lgkmcnt(0)
	v_add_u32_e32 v2, v2, v3
	ds_write_b32 v1, v2
.LBB11_53:
	s_or_b64 exec, exec, s[0:1]
	s_waitcnt lgkmcnt(0)
	s_barrier
	v_cmp_eq_u32_e32 vcc, 0, v0
	s_and_saveexec_b64 s[0:1], vcc
	s_cbranch_execz .LBB11_21
.LBB11_54:
	s_load_dwordx2 s[0:1], s[4:5], 0x20
	v_mov_b32_e32 v0, 0
	ds_read_b32 v1, v0
	s_ashr_i32 s7, s6, 31
	s_lshl_b64 s[2:3], s[6:7], 2
	s_waitcnt lgkmcnt(0)
	s_add_u32 s0, s0, s2
	s_addc_u32 s1, s1, s3
	global_store_dword v0, v1, s[0:1]
	s_endpgm
	.section	.rodata,"a",@progbits
	.p2align	6, 0x0
	.amdhsa_kernel _ZN9rocsparseL14nnz_kernel_colILi256Eii21rocsparse_complex_numIdEEEv16rocsparse_order_T1_S4_PKT2_lPT0_
		.amdhsa_group_segment_fixed_size 1024
		.amdhsa_private_segment_fixed_size 0
		.amdhsa_kernarg_size 40
		.amdhsa_user_sgpr_count 6
		.amdhsa_user_sgpr_private_segment_buffer 1
		.amdhsa_user_sgpr_dispatch_ptr 0
		.amdhsa_user_sgpr_queue_ptr 0
		.amdhsa_user_sgpr_kernarg_segment_ptr 1
		.amdhsa_user_sgpr_dispatch_id 0
		.amdhsa_user_sgpr_flat_scratch_init 0
		.amdhsa_user_sgpr_kernarg_preload_length 0
		.amdhsa_user_sgpr_kernarg_preload_offset 0
		.amdhsa_user_sgpr_private_segment_size 0
		.amdhsa_uses_dynamic_stack 0
		.amdhsa_system_sgpr_private_segment_wavefront_offset 0
		.amdhsa_system_sgpr_workgroup_id_x 1
		.amdhsa_system_sgpr_workgroup_id_y 0
		.amdhsa_system_sgpr_workgroup_id_z 0
		.amdhsa_system_sgpr_workgroup_info 0
		.amdhsa_system_vgpr_workitem_id 0
		.amdhsa_next_free_vgpr 38
		.amdhsa_next_free_sgpr 20
		.amdhsa_accum_offset 40
		.amdhsa_reserve_vcc 1
		.amdhsa_reserve_flat_scratch 0
		.amdhsa_float_round_mode_32 0
		.amdhsa_float_round_mode_16_64 0
		.amdhsa_float_denorm_mode_32 3
		.amdhsa_float_denorm_mode_16_64 3
		.amdhsa_dx10_clamp 1
		.amdhsa_ieee_mode 1
		.amdhsa_fp16_overflow 0
		.amdhsa_tg_split 0
		.amdhsa_exception_fp_ieee_invalid_op 0
		.amdhsa_exception_fp_denorm_src 0
		.amdhsa_exception_fp_ieee_div_zero 0
		.amdhsa_exception_fp_ieee_overflow 0
		.amdhsa_exception_fp_ieee_underflow 0
		.amdhsa_exception_fp_ieee_inexact 0
		.amdhsa_exception_int_div_zero 0
	.end_amdhsa_kernel
	.section	.text._ZN9rocsparseL14nnz_kernel_colILi256Eii21rocsparse_complex_numIdEEEv16rocsparse_order_T1_S4_PKT2_lPT0_,"axG",@progbits,_ZN9rocsparseL14nnz_kernel_colILi256Eii21rocsparse_complex_numIdEEEv16rocsparse_order_T1_S4_PKT2_lPT0_,comdat
.Lfunc_end11:
	.size	_ZN9rocsparseL14nnz_kernel_colILi256Eii21rocsparse_complex_numIdEEEv16rocsparse_order_T1_S4_PKT2_lPT0_, .Lfunc_end11-_ZN9rocsparseL14nnz_kernel_colILi256Eii21rocsparse_complex_numIdEEEv16rocsparse_order_T1_S4_PKT2_lPT0_
                                        ; -- End function
	.section	.AMDGPU.csdata,"",@progbits
; Kernel info:
; codeLenInByte = 1792
; NumSgprs: 24
; NumVgprs: 38
; NumAgprs: 0
; TotalNumVgprs: 38
; ScratchSize: 0
; MemoryBound: 0
; FloatMode: 240
; IeeeMode: 1
; LDSByteSize: 1024 bytes/workgroup (compile time only)
; SGPRBlocks: 2
; VGPRBlocks: 4
; NumSGPRsForWavesPerEU: 24
; NumVGPRsForWavesPerEU: 38
; AccumOffset: 40
; Occupancy: 8
; WaveLimiterHint : 0
; COMPUTE_PGM_RSRC2:SCRATCH_EN: 0
; COMPUTE_PGM_RSRC2:USER_SGPR: 6
; COMPUTE_PGM_RSRC2:TRAP_HANDLER: 0
; COMPUTE_PGM_RSRC2:TGID_X_EN: 1
; COMPUTE_PGM_RSRC2:TGID_Y_EN: 0
; COMPUTE_PGM_RSRC2:TGID_Z_EN: 0
; COMPUTE_PGM_RSRC2:TIDIG_COMP_CNT: 0
; COMPUTE_PGM_RSRC3_GFX90A:ACCUM_OFFSET: 9
; COMPUTE_PGM_RSRC3_GFX90A:TG_SPLIT: 0
	.section	.text._ZN9rocsparseL14nnz_kernel_rowILi64ELi16Eli18rocsparse_bfloat16EEv16rocsparse_order_T2_S3_PKT3_lPT1_,"axG",@progbits,_ZN9rocsparseL14nnz_kernel_rowILi64ELi16Eli18rocsparse_bfloat16EEv16rocsparse_order_T2_S3_PKT3_lPT1_,comdat
	.globl	_ZN9rocsparseL14nnz_kernel_rowILi64ELi16Eli18rocsparse_bfloat16EEv16rocsparse_order_T2_S3_PKT3_lPT1_ ; -- Begin function _ZN9rocsparseL14nnz_kernel_rowILi64ELi16Eli18rocsparse_bfloat16EEv16rocsparse_order_T2_S3_PKT3_lPT1_
	.p2align	8
	.type	_ZN9rocsparseL14nnz_kernel_rowILi64ELi16Eli18rocsparse_bfloat16EEv16rocsparse_order_T2_S3_PKT3_lPT1_,@function
_ZN9rocsparseL14nnz_kernel_rowILi64ELi16Eli18rocsparse_bfloat16EEv16rocsparse_order_T2_S3_PKT3_lPT1_: ; @_ZN9rocsparseL14nnz_kernel_rowILi64ELi16Eli18rocsparse_bfloat16EEv16rocsparse_order_T2_S3_PKT3_lPT1_
; %bb.0:
	s_load_dword s0, s[4:5], 0x34
	s_load_dwordx2 s[10:11], s[4:5], 0x20
	s_load_dwordx8 s[12:19], s[4:5], 0x0
	v_and_b32_e32 v1, 0x3ff, v0
	v_bfe_u32 v0, v0, 10, 10
	s_waitcnt lgkmcnt(0)
	s_and_b32 s0, s0, 0xffff
	v_mad_u32_u24 v33, v0, s0, v1
	s_ashr_i32 s0, s14, 31
	s_lshr_b32 s0, s0, 26
	s_mov_b32 s20, 0
	v_and_b32_e32 v35, 63, v33
	s_lshl_b32 s15, s6, 8
	s_add_i32 s33, s14, s0
	v_lshrrev_b32_e32 v0, 4, v33
	s_mov_b32 s21, s20
	v_or_b32_e32 v18, s15, v35
	s_andn2_b32 s33, s33, 63
	v_and_b32_e32 v16, 0x7ffffc, v0
	s_mov_b32 s22, s20
	s_mov_b32 s23, s20
	;; [unrolled: 1-line block ×6, first 2 shown]
	v_pk_mov_b32 v[0:1], s[20:21], s[20:21] op_sel:[0,1]
	v_cmp_gt_i32_e32 vcc, s33, v16
	v_pk_mov_b32 v[2:3], s[22:23], s[22:23] op_sel:[0,1]
	v_pk_mov_b32 v[4:5], s[24:25], s[24:25] op_sel:[0,1]
	;; [unrolled: 1-line block ×3, first 2 shown]
	v_or_b32_e32 v36, 64, v18
	s_and_saveexec_b64 s[28:29], vcc
	s_cbranch_execz .LBB12_28
; %bb.1:
	v_or_b32_e32 v0, 0x80, v18
	v_cmp_gt_i32_e64 s[4:5], s13, v0
	v_or_b32_e32 v0, 0xc0, v18
	v_cmp_gt_i32_e64 s[6:7], s13, v0
	v_add_u32_e32 v0, s15, v35
	v_ashrrev_i32_e32 v1, 31, v0
	v_mul_lo_u32 v4, s18, v1
	v_mul_lo_u32 v5, s19, v0
	v_mad_u64_u32 v[2:3], s[8:9], s18, v0, 0
	v_add3_u32 v3, v3, v4, v5
	v_lshrrev_b32_e32 v8, 6, v33
	v_lshlrev_b64 v[2:3], 1, v[2:3]
	v_lshlrev_b32_e32 v9, 3, v8
	v_lshlrev_b32_e32 v10, 2, v8
	v_add_co_u32_e32 v20, vcc, v2, v9
	v_or_b32_e32 v5, 3, v10
	v_addc_co_u32_e32 v17, vcc, 0, v3, vcc
	v_mad_u64_u32 v[2:3], s[8:9], s18, v5, 0
	v_mov_b32_e32 v4, v3
	v_mad_u64_u32 v[4:5], s[8:9], s19, v5, v[4:5]
	v_mov_b32_e32 v3, v4
	v_lshlrev_b64 v[2:3], 1, v[2:3]
	v_lshlrev_b64 v[4:5], 1, v[0:1]
	v_add_u32_e32 v1, 64, v0
	v_add_co_u32_e32 v22, vcc, v2, v4
	v_ashrrev_i32_e32 v2, 31, v1
	v_addc_co_u32_e32 v19, vcc, v3, v5, vcc
	v_mul_lo_u32 v6, s18, v2
	v_mul_lo_u32 v7, s19, v1
	v_mad_u64_u32 v[2:3], s[8:9], s18, v1, 0
	v_add3_u32 v3, v3, v6, v7
	v_lshlrev_b64 v[2:3], 1, v[2:3]
	v_add_co_u32_e32 v24, vcc, v2, v9
	v_or_b32_e32 v1, 2, v10
	v_addc_co_u32_e32 v21, vcc, 0, v3, vcc
	v_mad_u64_u32 v[2:3], s[8:9], s18, v1, 0
	v_mov_b32_e32 v6, v3
	v_mad_u64_u32 v[6:7], s[8:9], s19, v1, v[6:7]
	v_mov_b32_e32 v3, v6
	v_lshlrev_b64 v[2:3], 1, v[2:3]
	v_add_u32_e32 v1, 0x80, v0
	v_add_co_u32_e32 v26, vcc, v2, v4
	v_ashrrev_i32_e32 v2, 31, v1
	v_addc_co_u32_e32 v23, vcc, v3, v5, vcc
	v_mul_lo_u32 v6, s18, v2
	v_mul_lo_u32 v7, s19, v1
	v_mad_u64_u32 v[2:3], s[8:9], s18, v1, 0
	v_add3_u32 v3, v3, v6, v7
	v_lshlrev_b64 v[2:3], 1, v[2:3]
	v_add_co_u32_e32 v28, vcc, v2, v9
	v_addc_co_u32_e32 v25, vcc, 0, v3, vcc
	v_pk_mov_b32 v[2:3], s[18:19], s[18:19] op_sel:[0,1]
	v_mad_u64_u32 v[2:3], s[8:9], s18, v10, v[2:3]
	v_mov_b32_e32 v6, v3
	v_mad_u64_u32 v[6:7], s[8:9], s19, v10, v[6:7]
	v_mov_b32_e32 v3, v6
	v_lshlrev_b64 v[2:3], 1, v[2:3]
	v_add_u32_e32 v0, 0xc0, v0
	v_add_co_u32_e32 v30, vcc, v2, v4
	v_ashrrev_i32_e32 v1, 31, v0
	v_addc_co_u32_e32 v27, vcc, v3, v5, vcc
	v_mul_lo_u32 v2, s18, v1
	v_mul_lo_u32 v3, s19, v0
	v_mad_u64_u32 v[0:1], s[8:9], s18, v0, 0
	v_add3_u32 v1, v1, v2, v3
	v_lshlrev_b64 v[0:1], 1, v[0:1]
	v_add_co_u32_e32 v32, vcc, v0, v9
	v_addc_co_u32_e32 v29, vcc, 0, v1, vcc
	v_mad_u64_u32 v[0:1], s[8:9], s18, v8, 0
	v_mov_b32_e32 v2, v1
	v_mad_u64_u32 v[2:3], s[8:9], s19, v8, v[2:3]
	v_mov_b32_e32 v1, v2
	v_lshlrev_b64 v[0:1], 3, v[0:1]
	v_add_co_u32_e32 v34, vcc, v0, v4
	s_cmp_lg_u32 s12, 1
	v_addc_co_u32_e32 v31, vcc, v1, v5, vcc
	v_pk_mov_b32 v[0:1], s[20:21], s[20:21] op_sel:[0,1]
	s_cselect_b64 s[30:31], -1, 0
	v_cmp_gt_i32_e64 s[0:1], s13, v18
	v_cmp_gt_i32_e64 s[2:3], s13, v36
	s_lshl_b64 s[34:35], s[18:19], 7
	s_mov_b64 s[36:37], 0
	v_pk_mov_b32 v[2:3], s[22:23], s[22:23] op_sel:[0,1]
	v_pk_mov_b32 v[4:5], s[24:25], s[24:25] op_sel:[0,1]
	;; [unrolled: 1-line block ×3, first 2 shown]
	s_movk_i32 s24, 0x7fff
	s_branch .LBB12_4
.LBB12_2:                               ;   in Loop: Header=BB12_4 Depth=1
	v_pk_mov_b32 v[0:1], v[8:9], v[8:9] op_sel:[0,1]
	v_pk_mov_b32 v[2:3], v[10:11], v[10:11] op_sel:[0,1]
	;; [unrolled: 1-line block ×4, first 2 shown]
.LBB12_3:                               ;   in Loop: Header=BB12_4 Depth=1
	s_or_b64 exec, exec, s[20:21]
	v_add_co_u32_e32 v20, vcc, 0x80, v20
	v_addc_co_u32_e32 v17, vcc, 0, v17, vcc
	v_mov_b32_e32 v8, s35
	v_add_co_u32_e32 v22, vcc, s34, v22
	v_addc_co_u32_e32 v19, vcc, v19, v8, vcc
	v_add_co_u32_e32 v24, vcc, 0x80, v24
	v_addc_co_u32_e32 v21, vcc, 0, v21, vcc
	;; [unrolled: 2-line block ×5, first 2 shown]
	v_add_co_u32_e32 v32, vcc, 0x80, v32
	v_add_u32_e32 v16, 64, v16
	v_addc_co_u32_e32 v29, vcc, 0, v29, vcc
	v_cmp_le_i32_e32 vcc, s33, v16
	s_or_b64 s[36:37], vcc, s[36:37]
	v_add_co_u32_e32 v34, vcc, s34, v34
	v_addc_co_u32_e32 v31, vcc, v31, v8, vcc
	s_andn2_b64 exec, exec, s[36:37]
	s_cbranch_execz .LBB12_27
.LBB12_4:                               ; =>This Inner Loop Header: Depth=1
	v_cndmask_b32_e64 v8, 0, 1, s[30:31]
	v_cmp_ne_u32_e64 s[8:9], 1, v8
	s_and_saveexec_b64 s[20:21], s[0:1]
	s_cbranch_execnz .LBB12_8
; %bb.5:                                ;   in Loop: Header=BB12_4 Depth=1
	s_or_b64 exec, exec, s[20:21]
	s_and_saveexec_b64 s[20:21], s[2:3]
	s_cbranch_execnz .LBB12_13
.LBB12_6:                               ;   in Loop: Header=BB12_4 Depth=1
	s_or_b64 exec, exec, s[20:21]
	s_and_saveexec_b64 s[20:21], s[4:5]
	s_cbranch_execnz .LBB12_18
.LBB12_7:                               ;   in Loop: Header=BB12_4 Depth=1
	s_or_b64 exec, exec, s[20:21]
	s_and_saveexec_b64 s[20:21], s[6:7]
	s_cbranch_execz .LBB12_3
	s_branch .LBB12_23
.LBB12_8:                               ;   in Loop: Header=BB12_4 Depth=1
	s_and_b64 vcc, exec, s[8:9]
	s_cbranch_vccnz .LBB12_10
; %bb.9:                                ;   in Loop: Header=BB12_4 Depth=1
	v_mov_b32_e32 v9, s17
	v_add_co_u32_e32 v8, vcc, s16, v20
	v_addc_co_u32_e32 v9, vcc, v9, v17, vcc
	global_load_dwordx2 v[8:9], v[8:9], off
	v_add_co_u32_e32 v37, vcc, 1, v0
	v_addc_co_u32_e32 v38, vcc, 0, v1, vcc
	v_mov_b32_e32 v10, v2
	v_mov_b32_e32 v11, v3
	;; [unrolled: 1-line block ×6, first 2 shown]
	s_waitcnt vmcnt(0)
	v_and_b32_e32 v39, 0x7fff, v8
	v_cmp_eq_u16_e32 vcc, 0, v39
	v_cndmask_b32_e32 v37, v37, v0, vcc
	v_cndmask_b32_e32 v38, v38, v1, vcc
	v_add_co_u32_e32 v39, vcc, 1, v37
	v_and_b32_sdwa v8, v8, s24 dst_sel:DWORD dst_unused:UNUSED_PAD src0_sel:WORD_1 src1_sel:DWORD
	v_addc_co_u32_e32 v41, vcc, 0, v38, vcc
	v_cmp_eq_u16_e32 vcc, 0, v8
	v_cndmask_b32_e32 v37, v39, v37, vcc
	v_cndmask_b32_e32 v8, v41, v38, vcc
	v_add_co_u32_e32 v38, vcc, 1, v37
	v_and_b32_e32 v40, 0x7fff, v9
	v_addc_co_u32_e32 v39, vcc, 0, v8, vcc
	v_cmp_eq_u16_e32 vcc, 0, v40
	v_cndmask_b32_e32 v37, v38, v37, vcc
	v_cndmask_b32_e32 v8, v39, v8, vcc
	v_add_co_u32_e32 v38, vcc, 1, v37
	v_and_b32_sdwa v9, v9, s24 dst_sel:DWORD dst_unused:UNUSED_PAD src0_sel:WORD_1 src1_sel:DWORD
	v_addc_co_u32_e32 v39, vcc, 0, v8, vcc
	v_cmp_eq_u16_e32 vcc, 0, v9
	v_cndmask_b32_e32 v9, v39, v8, vcc
	v_cndmask_b32_e32 v8, v38, v37, vcc
	s_cbranch_execz .LBB12_11
	s_branch .LBB12_12
.LBB12_10:                              ;   in Loop: Header=BB12_4 Depth=1
                                        ; implicit-def: $vgpr8_vgpr9_vgpr10_vgpr11_vgpr12_vgpr13_vgpr14_vgpr15
.LBB12_11:                              ;   in Loop: Header=BB12_4 Depth=1
	v_mov_b32_e32 v15, s17
	v_add_co_u32_e32 v8, vcc, s16, v34
	v_addc_co_u32_e32 v9, vcc, v15, v31, vcc
	v_add_co_u32_e32 v10, vcc, s16, v30
	v_addc_co_u32_e32 v11, vcc, v15, v27, vcc
	;; [unrolled: 2-line block ×4, first 2 shown]
	global_load_ushort v37, v[8:9], off
	global_load_ushort v38, v[10:11], off
	;; [unrolled: 1-line block ×4, first 2 shown]
	v_add_co_u32_e32 v8, vcc, 1, v0
	v_addc_co_u32_e32 v9, vcc, 0, v1, vcc
	s_waitcnt vmcnt(3)
	v_and_b32_e32 v10, 0x7fff, v37
	v_cmp_eq_u16_e32 vcc, 0, v10
	v_cndmask_b32_e32 v0, v8, v0, vcc
	v_cndmask_b32_e32 v1, v9, v1, vcc
	v_add_co_u32_e32 v8, vcc, 1, v0
	s_waitcnt vmcnt(2)
	v_and_b32_e32 v11, 0x7fff, v38
	v_addc_co_u32_e32 v9, vcc, 0, v1, vcc
	v_cmp_eq_u16_e32 vcc, 0, v11
	v_cndmask_b32_e32 v0, v8, v0, vcc
	v_cndmask_b32_e32 v1, v9, v1, vcc
	v_add_co_u32_e32 v8, vcc, 1, v0
	s_waitcnt vmcnt(1)
	v_and_b32_e32 v12, 0x7fff, v39
	v_addc_co_u32_e32 v9, vcc, 0, v1, vcc
	;; [unrolled: 7-line block ×3, first 2 shown]
	v_cmp_eq_u16_e32 vcc, 0, v13
	v_cndmask_b32_e32 v1, v9, v1, vcc
	v_cndmask_b32_e32 v0, v8, v0, vcc
	v_pk_mov_b32 v[14:15], v[6:7], v[6:7] op_sel:[0,1]
	v_pk_mov_b32 v[12:13], v[4:5], v[4:5] op_sel:[0,1]
	;; [unrolled: 1-line block ×4, first 2 shown]
.LBB12_12:                              ;   in Loop: Header=BB12_4 Depth=1
	v_pk_mov_b32 v[0:1], v[8:9], v[8:9] op_sel:[0,1]
	v_pk_mov_b32 v[2:3], v[10:11], v[10:11] op_sel:[0,1]
	v_pk_mov_b32 v[4:5], v[12:13], v[12:13] op_sel:[0,1]
	v_pk_mov_b32 v[6:7], v[14:15], v[14:15] op_sel:[0,1]
	s_or_b64 exec, exec, s[20:21]
	s_and_saveexec_b64 s[20:21], s[2:3]
	s_cbranch_execz .LBB12_6
.LBB12_13:                              ;   in Loop: Header=BB12_4 Depth=1
	s_and_b64 vcc, exec, s[8:9]
	s_cbranch_vccnz .LBB12_15
; %bb.14:                               ;   in Loop: Header=BB12_4 Depth=1
	v_mov_b32_e32 v9, s17
	v_add_co_u32_e32 v8, vcc, s16, v24
	v_addc_co_u32_e32 v9, vcc, v9, v21, vcc
	global_load_dwordx2 v[10:11], v[8:9], off
	v_add_co_u32_e32 v37, vcc, 1, v2
	v_addc_co_u32_e32 v38, vcc, 0, v3, vcc
	v_mov_b32_e32 v8, v0
	v_mov_b32_e32 v9, v1
	;; [unrolled: 1-line block ×6, first 2 shown]
	s_waitcnt vmcnt(0)
	v_and_b32_e32 v39, 0x7fff, v10
	v_cmp_eq_u16_e32 vcc, 0, v39
	v_cndmask_b32_e32 v37, v37, v2, vcc
	v_cndmask_b32_e32 v38, v38, v3, vcc
	v_add_co_u32_e32 v39, vcc, 1, v37
	v_and_b32_sdwa v10, v10, s24 dst_sel:DWORD dst_unused:UNUSED_PAD src0_sel:WORD_1 src1_sel:DWORD
	v_addc_co_u32_e32 v41, vcc, 0, v38, vcc
	v_cmp_eq_u16_e32 vcc, 0, v10
	v_cndmask_b32_e32 v37, v39, v37, vcc
	v_cndmask_b32_e32 v10, v41, v38, vcc
	v_add_co_u32_e32 v38, vcc, 1, v37
	v_and_b32_e32 v40, 0x7fff, v11
	v_addc_co_u32_e32 v39, vcc, 0, v10, vcc
	v_cmp_eq_u16_e32 vcc, 0, v40
	v_cndmask_b32_e32 v37, v38, v37, vcc
	v_cndmask_b32_e32 v10, v39, v10, vcc
	v_add_co_u32_e32 v38, vcc, 1, v37
	v_and_b32_sdwa v11, v11, s24 dst_sel:DWORD dst_unused:UNUSED_PAD src0_sel:WORD_1 src1_sel:DWORD
	v_addc_co_u32_e32 v39, vcc, 0, v10, vcc
	v_cmp_eq_u16_e32 vcc, 0, v11
	v_cndmask_b32_e32 v11, v39, v10, vcc
	v_cndmask_b32_e32 v10, v38, v37, vcc
	s_cbranch_execz .LBB12_16
	s_branch .LBB12_17
.LBB12_15:                              ;   in Loop: Header=BB12_4 Depth=1
                                        ; implicit-def: $vgpr8_vgpr9_vgpr10_vgpr11_vgpr12_vgpr13_vgpr14_vgpr15
.LBB12_16:                              ;   in Loop: Header=BB12_4 Depth=1
	v_mov_b32_e32 v15, s17
	v_add_co_u32_e32 v8, vcc, s16, v34
	v_addc_co_u32_e32 v9, vcc, v15, v31, vcc
	v_add_co_u32_e32 v10, vcc, s16, v30
	v_addc_co_u32_e32 v11, vcc, v15, v27, vcc
	;; [unrolled: 2-line block ×4, first 2 shown]
	global_load_ushort v37, v[8:9], off offset:128
	global_load_ushort v38, v[10:11], off offset:128
	;; [unrolled: 1-line block ×4, first 2 shown]
	v_add_co_u32_e32 v8, vcc, 1, v2
	v_addc_co_u32_e32 v9, vcc, 0, v3, vcc
	s_waitcnt vmcnt(3)
	v_and_b32_e32 v10, 0x7fff, v37
	v_cmp_eq_u16_e32 vcc, 0, v10
	v_cndmask_b32_e32 v2, v8, v2, vcc
	v_cndmask_b32_e32 v3, v9, v3, vcc
	v_add_co_u32_e32 v8, vcc, 1, v2
	s_waitcnt vmcnt(2)
	v_and_b32_e32 v11, 0x7fff, v38
	v_addc_co_u32_e32 v9, vcc, 0, v3, vcc
	v_cmp_eq_u16_e32 vcc, 0, v11
	v_cndmask_b32_e32 v2, v8, v2, vcc
	v_cndmask_b32_e32 v3, v9, v3, vcc
	v_add_co_u32_e32 v8, vcc, 1, v2
	s_waitcnt vmcnt(1)
	v_and_b32_e32 v12, 0x7fff, v39
	v_addc_co_u32_e32 v9, vcc, 0, v3, vcc
	;; [unrolled: 7-line block ×3, first 2 shown]
	v_cmp_eq_u16_e32 vcc, 0, v13
	v_cndmask_b32_e32 v3, v9, v3, vcc
	v_cndmask_b32_e32 v2, v8, v2, vcc
	v_pk_mov_b32 v[14:15], v[6:7], v[6:7] op_sel:[0,1]
	v_pk_mov_b32 v[12:13], v[4:5], v[4:5] op_sel:[0,1]
	;; [unrolled: 1-line block ×4, first 2 shown]
.LBB12_17:                              ;   in Loop: Header=BB12_4 Depth=1
	v_pk_mov_b32 v[0:1], v[8:9], v[8:9] op_sel:[0,1]
	v_pk_mov_b32 v[2:3], v[10:11], v[10:11] op_sel:[0,1]
	v_pk_mov_b32 v[4:5], v[12:13], v[12:13] op_sel:[0,1]
	v_pk_mov_b32 v[6:7], v[14:15], v[14:15] op_sel:[0,1]
	s_or_b64 exec, exec, s[20:21]
	s_and_saveexec_b64 s[20:21], s[4:5]
	s_cbranch_execz .LBB12_7
.LBB12_18:                              ;   in Loop: Header=BB12_4 Depth=1
	s_and_b64 vcc, exec, s[8:9]
	s_cbranch_vccnz .LBB12_20
; %bb.19:                               ;   in Loop: Header=BB12_4 Depth=1
	v_mov_b32_e32 v9, s17
	v_add_co_u32_e32 v8, vcc, s16, v28
	v_addc_co_u32_e32 v9, vcc, v9, v25, vcc
	global_load_dwordx2 v[12:13], v[8:9], off
	v_add_co_u32_e32 v37, vcc, 1, v4
	v_addc_co_u32_e32 v38, vcc, 0, v5, vcc
	v_mov_b32_e32 v8, v0
	v_mov_b32_e32 v9, v1
	;; [unrolled: 1-line block ×6, first 2 shown]
	s_waitcnt vmcnt(0)
	v_and_b32_e32 v39, 0x7fff, v12
	v_cmp_eq_u16_e32 vcc, 0, v39
	v_cndmask_b32_e32 v37, v37, v4, vcc
	v_cndmask_b32_e32 v38, v38, v5, vcc
	v_add_co_u32_e32 v39, vcc, 1, v37
	v_and_b32_sdwa v12, v12, s24 dst_sel:DWORD dst_unused:UNUSED_PAD src0_sel:WORD_1 src1_sel:DWORD
	v_addc_co_u32_e32 v41, vcc, 0, v38, vcc
	v_cmp_eq_u16_e32 vcc, 0, v12
	v_cndmask_b32_e32 v37, v39, v37, vcc
	v_cndmask_b32_e32 v12, v41, v38, vcc
	v_add_co_u32_e32 v38, vcc, 1, v37
	v_and_b32_e32 v40, 0x7fff, v13
	v_addc_co_u32_e32 v39, vcc, 0, v12, vcc
	v_cmp_eq_u16_e32 vcc, 0, v40
	v_cndmask_b32_e32 v37, v38, v37, vcc
	v_cndmask_b32_e32 v12, v39, v12, vcc
	v_add_co_u32_e32 v38, vcc, 1, v37
	v_and_b32_sdwa v13, v13, s24 dst_sel:DWORD dst_unused:UNUSED_PAD src0_sel:WORD_1 src1_sel:DWORD
	v_addc_co_u32_e32 v39, vcc, 0, v12, vcc
	v_cmp_eq_u16_e32 vcc, 0, v13
	v_cndmask_b32_e32 v13, v39, v12, vcc
	v_cndmask_b32_e32 v12, v38, v37, vcc
	s_cbranch_execz .LBB12_21
	s_branch .LBB12_22
.LBB12_20:                              ;   in Loop: Header=BB12_4 Depth=1
                                        ; implicit-def: $vgpr8_vgpr9_vgpr10_vgpr11_vgpr12_vgpr13_vgpr14_vgpr15
.LBB12_21:                              ;   in Loop: Header=BB12_4 Depth=1
	v_mov_b32_e32 v15, s17
	v_add_co_u32_e32 v8, vcc, s16, v34
	v_addc_co_u32_e32 v9, vcc, v15, v31, vcc
	v_add_co_u32_e32 v10, vcc, s16, v30
	v_addc_co_u32_e32 v11, vcc, v15, v27, vcc
	;; [unrolled: 2-line block ×4, first 2 shown]
	global_load_ushort v37, v[8:9], off offset:256
	global_load_ushort v38, v[10:11], off offset:256
	;; [unrolled: 1-line block ×4, first 2 shown]
	v_add_co_u32_e32 v8, vcc, 1, v4
	v_addc_co_u32_e32 v9, vcc, 0, v5, vcc
	s_waitcnt vmcnt(3)
	v_and_b32_e32 v10, 0x7fff, v37
	v_cmp_eq_u16_e32 vcc, 0, v10
	v_cndmask_b32_e32 v4, v8, v4, vcc
	v_cndmask_b32_e32 v5, v9, v5, vcc
	v_add_co_u32_e32 v8, vcc, 1, v4
	s_waitcnt vmcnt(2)
	v_and_b32_e32 v11, 0x7fff, v38
	v_addc_co_u32_e32 v9, vcc, 0, v5, vcc
	v_cmp_eq_u16_e32 vcc, 0, v11
	v_cndmask_b32_e32 v4, v8, v4, vcc
	v_cndmask_b32_e32 v5, v9, v5, vcc
	v_add_co_u32_e32 v8, vcc, 1, v4
	s_waitcnt vmcnt(1)
	v_and_b32_e32 v12, 0x7fff, v39
	v_addc_co_u32_e32 v9, vcc, 0, v5, vcc
	;; [unrolled: 7-line block ×3, first 2 shown]
	v_cmp_eq_u16_e32 vcc, 0, v13
	v_cndmask_b32_e32 v5, v9, v5, vcc
	v_cndmask_b32_e32 v4, v8, v4, vcc
	v_pk_mov_b32 v[14:15], v[6:7], v[6:7] op_sel:[0,1]
	v_pk_mov_b32 v[12:13], v[4:5], v[4:5] op_sel:[0,1]
	;; [unrolled: 1-line block ×4, first 2 shown]
.LBB12_22:                              ;   in Loop: Header=BB12_4 Depth=1
	v_pk_mov_b32 v[0:1], v[8:9], v[8:9] op_sel:[0,1]
	v_pk_mov_b32 v[2:3], v[10:11], v[10:11] op_sel:[0,1]
	;; [unrolled: 1-line block ×4, first 2 shown]
	s_or_b64 exec, exec, s[20:21]
	s_and_saveexec_b64 s[20:21], s[6:7]
	s_cbranch_execz .LBB12_3
.LBB12_23:                              ;   in Loop: Header=BB12_4 Depth=1
	s_and_b64 vcc, exec, s[8:9]
	s_cbranch_vccnz .LBB12_25
; %bb.24:                               ;   in Loop: Header=BB12_4 Depth=1
	v_mov_b32_e32 v9, s17
	v_add_co_u32_e32 v8, vcc, s16, v32
	v_addc_co_u32_e32 v9, vcc, v9, v29, vcc
	global_load_dwordx2 v[14:15], v[8:9], off
	v_add_co_u32_e32 v37, vcc, 1, v6
	v_addc_co_u32_e32 v38, vcc, 0, v7, vcc
	v_mov_b32_e32 v8, v0
	v_mov_b32_e32 v9, v1
	;; [unrolled: 1-line block ×6, first 2 shown]
	s_waitcnt vmcnt(0)
	v_and_b32_e32 v39, 0x7fff, v14
	v_cmp_eq_u16_e32 vcc, 0, v39
	v_cndmask_b32_e32 v37, v37, v6, vcc
	v_cndmask_b32_e32 v38, v38, v7, vcc
	v_add_co_u32_e32 v39, vcc, 1, v37
	v_and_b32_sdwa v14, v14, s24 dst_sel:DWORD dst_unused:UNUSED_PAD src0_sel:WORD_1 src1_sel:DWORD
	v_addc_co_u32_e32 v41, vcc, 0, v38, vcc
	v_cmp_eq_u16_e32 vcc, 0, v14
	v_cndmask_b32_e32 v37, v39, v37, vcc
	v_cndmask_b32_e32 v14, v41, v38, vcc
	v_add_co_u32_e32 v38, vcc, 1, v37
	v_and_b32_e32 v40, 0x7fff, v15
	v_addc_co_u32_e32 v39, vcc, 0, v14, vcc
	v_cmp_eq_u16_e32 vcc, 0, v40
	v_cndmask_b32_e32 v37, v38, v37, vcc
	v_cndmask_b32_e32 v14, v39, v14, vcc
	v_add_co_u32_e32 v38, vcc, 1, v37
	v_and_b32_sdwa v15, v15, s24 dst_sel:DWORD dst_unused:UNUSED_PAD src0_sel:WORD_1 src1_sel:DWORD
	v_addc_co_u32_e32 v39, vcc, 0, v14, vcc
	v_cmp_eq_u16_e32 vcc, 0, v15
	v_cndmask_b32_e32 v15, v39, v14, vcc
	v_cndmask_b32_e32 v14, v38, v37, vcc
	s_cbranch_execnz .LBB12_2
	s_branch .LBB12_26
.LBB12_25:                              ;   in Loop: Header=BB12_4 Depth=1
                                        ; implicit-def: $vgpr8_vgpr9_vgpr10_vgpr11_vgpr12_vgpr13_vgpr14_vgpr15
.LBB12_26:                              ;   in Loop: Header=BB12_4 Depth=1
	v_mov_b32_e32 v15, s17
	v_add_co_u32_e32 v8, vcc, s16, v34
	v_addc_co_u32_e32 v9, vcc, v15, v31, vcc
	v_add_co_u32_e32 v10, vcc, s16, v30
	v_addc_co_u32_e32 v11, vcc, v15, v27, vcc
	;; [unrolled: 2-line block ×4, first 2 shown]
	global_load_ushort v37, v[8:9], off offset:384
	global_load_ushort v38, v[10:11], off offset:384
	;; [unrolled: 1-line block ×4, first 2 shown]
	v_add_co_u32_e32 v8, vcc, 1, v6
	v_addc_co_u32_e32 v9, vcc, 0, v7, vcc
	s_waitcnt vmcnt(3)
	v_and_b32_e32 v10, 0x7fff, v37
	v_cmp_eq_u16_e32 vcc, 0, v10
	v_cndmask_b32_e32 v6, v8, v6, vcc
	v_cndmask_b32_e32 v7, v9, v7, vcc
	v_add_co_u32_e32 v8, vcc, 1, v6
	s_waitcnt vmcnt(2)
	v_and_b32_e32 v11, 0x7fff, v38
	v_addc_co_u32_e32 v9, vcc, 0, v7, vcc
	v_cmp_eq_u16_e32 vcc, 0, v11
	v_cndmask_b32_e32 v6, v8, v6, vcc
	v_cndmask_b32_e32 v7, v9, v7, vcc
	v_add_co_u32_e32 v8, vcc, 1, v6
	s_waitcnt vmcnt(1)
	v_and_b32_e32 v12, 0x7fff, v39
	v_addc_co_u32_e32 v9, vcc, 0, v7, vcc
	;; [unrolled: 7-line block ×3, first 2 shown]
	v_cmp_eq_u16_e32 vcc, 0, v13
	v_cndmask_b32_e32 v7, v9, v7, vcc
	v_cndmask_b32_e32 v6, v8, v6, vcc
	v_pk_mov_b32 v[14:15], v[6:7], v[6:7] op_sel:[0,1]
	v_pk_mov_b32 v[12:13], v[4:5], v[4:5] op_sel:[0,1]
	;; [unrolled: 1-line block ×4, first 2 shown]
	s_branch .LBB12_2
.LBB12_27:
	s_or_b64 exec, exec, s[36:37]
.LBB12_28:
	s_or_b64 exec, exec, s[28:29]
	s_sub_i32 s0, s14, s33
	s_cmp_lt_i32 s0, 1
	s_cbranch_scc1 .LBB12_126
; %bb.29:
	v_mov_b32_e32 v17, 0
	v_lshlrev_b64 v[8:9], 1, v[16:17]
	s_cmp_eq_u32 s12, 1
	v_mov_b32_e32 v10, s17
	v_add_co_u32_e32 v12, vcc, s16, v8
	s_cselect_b64 s[2:3], -1, 0
	s_cmp_lg_u32 s12, 1
	v_addc_co_u32_e32 v13, vcc, v10, v9, vcc
	s_cselect_b64 s[0:1], -1, 0
	v_cmp_gt_i32_e32 vcc, s13, v18
	v_ashrrev_i32_e32 v19, 31, v18
	s_and_saveexec_b64 s[4:5], vcc
	s_cbranch_execz .LBB12_53
; %bb.30:
	v_mul_lo_u32 v10, v18, s19
	v_mul_lo_u32 v11, v19, s18
	v_mad_u64_u32 v[8:9], s[6:7], v18, s18, 0
	v_add3_u32 v9, v9, v10, v11
	v_lshlrev_b64 v[8:9], 1, v[8:9]
	v_add_co_u32_e32 v8, vcc, v12, v8
	v_addc_co_u32_e32 v9, vcc, v13, v9, vcc
	v_lshlrev_b64 v[10:11], 1, v[18:19]
	v_mov_b32_e32 v15, s17
	v_add_co_u32_e32 v14, vcc, s16, v10
	v_addc_co_u32_e32 v15, vcc, v15, v11, vcc
	v_cmp_gt_i32_e32 vcc, s14, v16
	s_and_saveexec_b64 s[6:7], vcc
	s_cbranch_execz .LBB12_34
; %bb.31:
	s_andn2_b64 vcc, exec, s[2:3]
	v_pk_mov_b32 v[10:11], v[8:9], v[8:9] op_sel:[0,1]
	s_cbranch_vccnz .LBB12_33
; %bb.32:
	v_mad_u64_u32 v[10:11], s[8:9], v16, s18, 0
	v_mov_b32_e32 v20, v11
	v_mad_u64_u32 v[20:21], s[8:9], v16, s19, v[20:21]
	v_mov_b32_e32 v11, v20
	v_lshlrev_b64 v[10:11], 1, v[10:11]
	v_add_co_u32_e32 v10, vcc, v14, v10
	v_addc_co_u32_e32 v11, vcc, v15, v11, vcc
.LBB12_33:
	global_load_ushort v10, v[10:11], off
	s_waitcnt vmcnt(0)
	v_and_b32_e32 v10, 0x7fff, v10
	v_cmp_ne_u16_e32 vcc, 0, v10
	v_cndmask_b32_e64 v10, 0, 1, vcc
	v_add_co_u32_e32 v0, vcc, v0, v10
	v_addc_co_u32_e32 v1, vcc, 0, v1, vcc
.LBB12_34:
	s_or_b64 exec, exec, s[6:7]
	v_or_b32_e32 v17, 1, v16
	v_cmp_gt_i32_e32 vcc, s14, v17
	s_and_saveexec_b64 s[6:7], vcc
	s_cbranch_execz .LBB12_40
; %bb.35:
	s_andn2_b64 vcc, exec, s[0:1]
	s_cbranch_vccnz .LBB12_37
; %bb.36:
	v_add_co_u32_e32 v10, vcc, 2, v8
	v_addc_co_u32_e32 v11, vcc, 0, v9, vcc
	s_cbranch_execz .LBB12_38
	s_branch .LBB12_39
.LBB12_37:
                                        ; implicit-def: $vgpr10_vgpr11
.LBB12_38:
	v_mad_u64_u32 v[10:11], s[8:9], v17, s18, 0
	v_mov_b32_e32 v20, v11
	v_mad_u64_u32 v[20:21], s[8:9], v17, s19, v[20:21]
	v_mov_b32_e32 v11, v20
	v_lshlrev_b64 v[10:11], 1, v[10:11]
	v_add_co_u32_e32 v10, vcc, v14, v10
	v_addc_co_u32_e32 v11, vcc, v15, v11, vcc
.LBB12_39:
	global_load_ushort v10, v[10:11], off
	s_waitcnt vmcnt(0)
	v_and_b32_e32 v10, 0x7fff, v10
	v_cmp_ne_u16_e32 vcc, 0, v10
	v_cndmask_b32_e64 v10, 0, 1, vcc
	v_add_co_u32_e32 v0, vcc, v0, v10
	v_addc_co_u32_e32 v1, vcc, 0, v1, vcc
.LBB12_40:
	s_or_b64 exec, exec, s[6:7]
	v_or_b32_e32 v17, 2, v16
	v_cmp_gt_i32_e32 vcc, s14, v17
	s_and_saveexec_b64 s[6:7], vcc
	s_cbranch_execz .LBB12_46
; %bb.41:
	s_andn2_b64 vcc, exec, s[0:1]
	s_cbranch_vccnz .LBB12_43
; %bb.42:
	v_add_co_u32_e32 v10, vcc, 4, v8
	v_addc_co_u32_e32 v11, vcc, 0, v9, vcc
	s_cbranch_execz .LBB12_44
	s_branch .LBB12_45
.LBB12_43:
                                        ; implicit-def: $vgpr10_vgpr11
.LBB12_44:
	v_mad_u64_u32 v[10:11], s[8:9], v17, s18, 0
	v_mov_b32_e32 v20, v11
	v_mad_u64_u32 v[20:21], s[8:9], v17, s19, v[20:21]
	v_mov_b32_e32 v11, v20
	v_lshlrev_b64 v[10:11], 1, v[10:11]
	v_add_co_u32_e32 v10, vcc, v14, v10
	v_addc_co_u32_e32 v11, vcc, v15, v11, vcc
.LBB12_45:
	global_load_ushort v10, v[10:11], off
	s_waitcnt vmcnt(0)
	v_and_b32_e32 v10, 0x7fff, v10
	v_cmp_ne_u16_e32 vcc, 0, v10
	v_cndmask_b32_e64 v10, 0, 1, vcc
	v_add_co_u32_e32 v0, vcc, v0, v10
	v_addc_co_u32_e32 v1, vcc, 0, v1, vcc
.LBB12_46:
	s_or_b64 exec, exec, s[6:7]
	v_or_b32_e32 v10, 3, v16
	v_cmp_gt_i32_e32 vcc, s14, v10
	s_and_saveexec_b64 s[6:7], vcc
	s_cbranch_execz .LBB12_52
; %bb.47:
	s_andn2_b64 vcc, exec, s[0:1]
	s_cbranch_vccnz .LBB12_49
; %bb.48:
	v_add_co_u32_e32 v8, vcc, 6, v8
	v_addc_co_u32_e32 v9, vcc, 0, v9, vcc
	s_cbranch_execz .LBB12_50
	s_branch .LBB12_51
.LBB12_49:
                                        ; implicit-def: $vgpr8_vgpr9
.LBB12_50:
	v_mad_u64_u32 v[8:9], s[8:9], v10, s18, 0
	v_mov_b32_e32 v20, v9
	v_mad_u64_u32 v[10:11], s[8:9], v10, s19, v[20:21]
	v_mov_b32_e32 v9, v10
	v_lshlrev_b64 v[8:9], 1, v[8:9]
	v_add_co_u32_e32 v8, vcc, v14, v8
	v_addc_co_u32_e32 v9, vcc, v15, v9, vcc
.LBB12_51:
	global_load_ushort v8, v[8:9], off
	s_waitcnt vmcnt(0)
	v_and_b32_e32 v8, 0x7fff, v8
	v_cmp_ne_u16_e32 vcc, 0, v8
	v_cndmask_b32_e64 v8, 0, 1, vcc
	v_add_co_u32_e32 v0, vcc, v0, v8
	v_addc_co_u32_e32 v1, vcc, 0, v1, vcc
.LBB12_52:
	s_or_b64 exec, exec, s[6:7]
.LBB12_53:
	s_or_b64 exec, exec, s[4:5]
	v_cmp_gt_i32_e32 vcc, s13, v36
	s_and_saveexec_b64 s[4:5], vcc
	s_cbranch_execz .LBB12_77
; %bb.54:
	v_ashrrev_i32_e32 v8, 31, v36
	v_mul_lo_u32 v10, v36, s19
	v_mul_lo_u32 v11, v8, s18
	v_mad_u64_u32 v[8:9], s[6:7], v36, s18, 0
	v_add3_u32 v9, v9, v10, v11
	v_lshlrev_b64 v[8:9], 1, v[8:9]
	v_add_co_u32_e32 v8, vcc, v12, v8
	v_addc_co_u32_e32 v9, vcc, v13, v9, vcc
	v_lshlrev_b64 v[10:11], 1, v[18:19]
	v_mov_b32_e32 v15, s17
	v_add_co_u32_e32 v14, vcc, s16, v10
	v_addc_co_u32_e32 v15, vcc, v15, v11, vcc
	v_cmp_gt_i32_e32 vcc, s14, v16
	s_and_saveexec_b64 s[6:7], vcc
	s_cbranch_execz .LBB12_58
; %bb.55:
	s_andn2_b64 vcc, exec, s[2:3]
	v_pk_mov_b32 v[10:11], v[8:9], v[8:9] op_sel:[0,1]
	s_cbranch_vccnz .LBB12_57
; %bb.56:
	v_mad_u64_u32 v[10:11], s[8:9], v16, s18, 0
	v_mov_b32_e32 v20, v11
	v_mad_u64_u32 v[20:21], s[8:9], v16, s19, v[20:21]
	v_mov_b32_e32 v11, v20
	v_lshlrev_b64 v[10:11], 1, v[10:11]
	v_add_co_u32_e32 v10, vcc, v14, v10
	v_addc_co_u32_e32 v11, vcc, v15, v11, vcc
	v_add_co_u32_e32 v10, vcc, 0x80, v10
	v_addc_co_u32_e32 v11, vcc, 0, v11, vcc
.LBB12_57:
	global_load_ushort v10, v[10:11], off
	s_waitcnt vmcnt(0)
	v_and_b32_e32 v10, 0x7fff, v10
	v_cmp_ne_u16_e32 vcc, 0, v10
	v_cndmask_b32_e64 v10, 0, 1, vcc
	v_add_co_u32_e32 v2, vcc, v2, v10
	v_addc_co_u32_e32 v3, vcc, 0, v3, vcc
.LBB12_58:
	s_or_b64 exec, exec, s[6:7]
	v_or_b32_e32 v17, 1, v16
	v_cmp_gt_i32_e32 vcc, s14, v17
	s_and_saveexec_b64 s[6:7], vcc
	s_cbranch_execz .LBB12_64
; %bb.59:
	s_andn2_b64 vcc, exec, s[0:1]
	s_cbranch_vccnz .LBB12_61
; %bb.60:
	v_add_co_u32_e32 v10, vcc, 2, v8
	v_addc_co_u32_e32 v11, vcc, 0, v9, vcc
	s_cbranch_execz .LBB12_62
	s_branch .LBB12_63
.LBB12_61:
                                        ; implicit-def: $vgpr10_vgpr11
.LBB12_62:
	v_mad_u64_u32 v[10:11], s[8:9], v17, s18, 0
	v_mov_b32_e32 v20, v11
	v_mad_u64_u32 v[20:21], s[8:9], v17, s19, v[20:21]
	v_mov_b32_e32 v11, v20
	v_lshlrev_b64 v[10:11], 1, v[10:11]
	v_add_co_u32_e32 v10, vcc, v14, v10
	v_addc_co_u32_e32 v11, vcc, v15, v11, vcc
	v_add_co_u32_e32 v10, vcc, 0x80, v10
	v_addc_co_u32_e32 v11, vcc, 0, v11, vcc
.LBB12_63:
	global_load_ushort v10, v[10:11], off
	s_waitcnt vmcnt(0)
	v_and_b32_e32 v10, 0x7fff, v10
	v_cmp_ne_u16_e32 vcc, 0, v10
	v_cndmask_b32_e64 v10, 0, 1, vcc
	v_add_co_u32_e32 v2, vcc, v2, v10
	v_addc_co_u32_e32 v3, vcc, 0, v3, vcc
.LBB12_64:
	s_or_b64 exec, exec, s[6:7]
	v_or_b32_e32 v17, 2, v16
	v_cmp_gt_i32_e32 vcc, s14, v17
	s_and_saveexec_b64 s[6:7], vcc
	s_cbranch_execz .LBB12_70
; %bb.65:
	s_andn2_b64 vcc, exec, s[0:1]
	s_cbranch_vccnz .LBB12_67
; %bb.66:
	v_add_co_u32_e32 v10, vcc, 4, v8
	v_addc_co_u32_e32 v11, vcc, 0, v9, vcc
	s_cbranch_execz .LBB12_68
	s_branch .LBB12_69
.LBB12_67:
                                        ; implicit-def: $vgpr10_vgpr11
.LBB12_68:
	v_mad_u64_u32 v[10:11], s[8:9], v17, s18, 0
	v_mov_b32_e32 v20, v11
	v_mad_u64_u32 v[20:21], s[8:9], v17, s19, v[20:21]
	v_mov_b32_e32 v11, v20
	v_lshlrev_b64 v[10:11], 1, v[10:11]
	v_add_co_u32_e32 v10, vcc, v14, v10
	v_addc_co_u32_e32 v11, vcc, v15, v11, vcc
	v_add_co_u32_e32 v10, vcc, 0x80, v10
	v_addc_co_u32_e32 v11, vcc, 0, v11, vcc
.LBB12_69:
	global_load_ushort v10, v[10:11], off
	s_waitcnt vmcnt(0)
	v_and_b32_e32 v10, 0x7fff, v10
	v_cmp_ne_u16_e32 vcc, 0, v10
	v_cndmask_b32_e64 v10, 0, 1, vcc
	v_add_co_u32_e32 v2, vcc, v2, v10
	v_addc_co_u32_e32 v3, vcc, 0, v3, vcc
.LBB12_70:
	s_or_b64 exec, exec, s[6:7]
	v_or_b32_e32 v10, 3, v16
	v_cmp_gt_i32_e32 vcc, s14, v10
	s_and_saveexec_b64 s[6:7], vcc
	s_cbranch_execz .LBB12_76
; %bb.71:
	s_andn2_b64 vcc, exec, s[0:1]
	s_cbranch_vccnz .LBB12_73
; %bb.72:
	v_add_co_u32_e32 v8, vcc, 6, v8
	v_addc_co_u32_e32 v9, vcc, 0, v9, vcc
	s_cbranch_execz .LBB12_74
	s_branch .LBB12_75
.LBB12_73:
                                        ; implicit-def: $vgpr8_vgpr9
.LBB12_74:
	v_mad_u64_u32 v[8:9], s[8:9], v10, s18, 0
	v_mov_b32_e32 v20, v9
	v_mad_u64_u32 v[10:11], s[8:9], v10, s19, v[20:21]
	v_mov_b32_e32 v9, v10
	v_lshlrev_b64 v[8:9], 1, v[8:9]
	v_add_co_u32_e32 v8, vcc, v14, v8
	v_addc_co_u32_e32 v9, vcc, v15, v9, vcc
	v_add_co_u32_e32 v8, vcc, 0x80, v8
	v_addc_co_u32_e32 v9, vcc, 0, v9, vcc
.LBB12_75:
	global_load_ushort v8, v[8:9], off
	s_waitcnt vmcnt(0)
	v_and_b32_e32 v8, 0x7fff, v8
	v_cmp_ne_u16_e32 vcc, 0, v8
	v_cndmask_b32_e64 v8, 0, 1, vcc
	v_add_co_u32_e32 v2, vcc, v2, v8
	v_addc_co_u32_e32 v3, vcc, 0, v3, vcc
.LBB12_76:
	s_or_b64 exec, exec, s[6:7]
.LBB12_77:
	s_or_b64 exec, exec, s[4:5]
	v_or_b32_e32 v8, 0x80, v18
	v_cmp_gt_i32_e32 vcc, s13, v8
	s_and_saveexec_b64 s[4:5], vcc
	s_cbranch_execz .LBB12_101
; %bb.78:
	v_ashrrev_i32_e32 v9, 31, v8
	v_mul_lo_u32 v10, v8, s19
	v_mul_lo_u32 v11, v9, s18
	v_mad_u64_u32 v[8:9], s[6:7], v8, s18, 0
	v_add3_u32 v9, v9, v10, v11
	v_lshlrev_b64 v[8:9], 1, v[8:9]
	v_add_co_u32_e32 v8, vcc, v12, v8
	v_addc_co_u32_e32 v9, vcc, v13, v9, vcc
	v_lshlrev_b64 v[10:11], 1, v[18:19]
	v_mov_b32_e32 v15, s17
	v_add_co_u32_e32 v14, vcc, s16, v10
	v_addc_co_u32_e32 v15, vcc, v15, v11, vcc
	v_cmp_gt_i32_e32 vcc, s14, v16
	s_and_saveexec_b64 s[6:7], vcc
	s_cbranch_execz .LBB12_82
; %bb.79:
	s_andn2_b64 vcc, exec, s[2:3]
	v_pk_mov_b32 v[10:11], v[8:9], v[8:9] op_sel:[0,1]
	s_cbranch_vccnz .LBB12_81
; %bb.80:
	v_mad_u64_u32 v[10:11], s[8:9], v16, s18, 0
	v_mov_b32_e32 v20, v11
	v_mad_u64_u32 v[20:21], s[8:9], v16, s19, v[20:21]
	v_mov_b32_e32 v11, v20
	v_lshlrev_b64 v[10:11], 1, v[10:11]
	v_add_co_u32_e32 v10, vcc, v14, v10
	v_addc_co_u32_e32 v11, vcc, v15, v11, vcc
	v_add_co_u32_e32 v10, vcc, 0x100, v10
	v_addc_co_u32_e32 v11, vcc, 0, v11, vcc
.LBB12_81:
	global_load_ushort v10, v[10:11], off
	s_waitcnt vmcnt(0)
	v_and_b32_e32 v10, 0x7fff, v10
	v_cmp_ne_u16_e32 vcc, 0, v10
	v_cndmask_b32_e64 v10, 0, 1, vcc
	v_add_co_u32_e32 v4, vcc, v4, v10
	v_addc_co_u32_e32 v5, vcc, 0, v5, vcc
.LBB12_82:
	s_or_b64 exec, exec, s[6:7]
	v_or_b32_e32 v17, 1, v16
	v_cmp_gt_i32_e32 vcc, s14, v17
	s_and_saveexec_b64 s[6:7], vcc
	s_cbranch_execz .LBB12_88
; %bb.83:
	s_andn2_b64 vcc, exec, s[0:1]
	s_cbranch_vccnz .LBB12_85
; %bb.84:
	v_add_co_u32_e32 v10, vcc, 2, v8
	v_addc_co_u32_e32 v11, vcc, 0, v9, vcc
	s_cbranch_execz .LBB12_86
	s_branch .LBB12_87
.LBB12_85:
                                        ; implicit-def: $vgpr10_vgpr11
.LBB12_86:
	v_mad_u64_u32 v[10:11], s[8:9], v17, s18, 0
	v_mov_b32_e32 v20, v11
	v_mad_u64_u32 v[20:21], s[8:9], v17, s19, v[20:21]
	v_mov_b32_e32 v11, v20
	v_lshlrev_b64 v[10:11], 1, v[10:11]
	v_add_co_u32_e32 v10, vcc, v14, v10
	v_addc_co_u32_e32 v11, vcc, v15, v11, vcc
	v_add_co_u32_e32 v10, vcc, 0x100, v10
	v_addc_co_u32_e32 v11, vcc, 0, v11, vcc
.LBB12_87:
	global_load_ushort v10, v[10:11], off
	s_waitcnt vmcnt(0)
	v_and_b32_e32 v10, 0x7fff, v10
	v_cmp_ne_u16_e32 vcc, 0, v10
	v_cndmask_b32_e64 v10, 0, 1, vcc
	v_add_co_u32_e32 v4, vcc, v4, v10
	v_addc_co_u32_e32 v5, vcc, 0, v5, vcc
.LBB12_88:
	s_or_b64 exec, exec, s[6:7]
	v_or_b32_e32 v17, 2, v16
	v_cmp_gt_i32_e32 vcc, s14, v17
	s_and_saveexec_b64 s[6:7], vcc
	s_cbranch_execz .LBB12_94
; %bb.89:
	s_andn2_b64 vcc, exec, s[0:1]
	s_cbranch_vccnz .LBB12_91
; %bb.90:
	v_add_co_u32_e32 v10, vcc, 4, v8
	v_addc_co_u32_e32 v11, vcc, 0, v9, vcc
	s_cbranch_execz .LBB12_92
	s_branch .LBB12_93
.LBB12_91:
                                        ; implicit-def: $vgpr10_vgpr11
.LBB12_92:
	v_mad_u64_u32 v[10:11], s[8:9], v17, s18, 0
	v_mov_b32_e32 v20, v11
	v_mad_u64_u32 v[20:21], s[8:9], v17, s19, v[20:21]
	v_mov_b32_e32 v11, v20
	v_lshlrev_b64 v[10:11], 1, v[10:11]
	v_add_co_u32_e32 v10, vcc, v14, v10
	v_addc_co_u32_e32 v11, vcc, v15, v11, vcc
	v_add_co_u32_e32 v10, vcc, 0x100, v10
	v_addc_co_u32_e32 v11, vcc, 0, v11, vcc
.LBB12_93:
	global_load_ushort v10, v[10:11], off
	s_waitcnt vmcnt(0)
	v_and_b32_e32 v10, 0x7fff, v10
	v_cmp_ne_u16_e32 vcc, 0, v10
	v_cndmask_b32_e64 v10, 0, 1, vcc
	v_add_co_u32_e32 v4, vcc, v4, v10
	v_addc_co_u32_e32 v5, vcc, 0, v5, vcc
.LBB12_94:
	s_or_b64 exec, exec, s[6:7]
	v_or_b32_e32 v10, 3, v16
	v_cmp_gt_i32_e32 vcc, s14, v10
	s_and_saveexec_b64 s[6:7], vcc
	s_cbranch_execz .LBB12_100
; %bb.95:
	s_andn2_b64 vcc, exec, s[0:1]
	s_cbranch_vccnz .LBB12_97
; %bb.96:
	v_add_co_u32_e32 v8, vcc, 6, v8
	v_addc_co_u32_e32 v9, vcc, 0, v9, vcc
	s_cbranch_execz .LBB12_98
	s_branch .LBB12_99
.LBB12_97:
                                        ; implicit-def: $vgpr8_vgpr9
.LBB12_98:
	v_mad_u64_u32 v[8:9], s[8:9], v10, s18, 0
	v_mov_b32_e32 v20, v9
	v_mad_u64_u32 v[10:11], s[8:9], v10, s19, v[20:21]
	v_mov_b32_e32 v9, v10
	v_lshlrev_b64 v[8:9], 1, v[8:9]
	v_add_co_u32_e32 v8, vcc, v14, v8
	v_addc_co_u32_e32 v9, vcc, v15, v9, vcc
	v_add_co_u32_e32 v8, vcc, 0x100, v8
	v_addc_co_u32_e32 v9, vcc, 0, v9, vcc
.LBB12_99:
	global_load_ushort v8, v[8:9], off
	s_waitcnt vmcnt(0)
	v_and_b32_e32 v8, 0x7fff, v8
	v_cmp_ne_u16_e32 vcc, 0, v8
	v_cndmask_b32_e64 v8, 0, 1, vcc
	v_add_co_u32_e32 v4, vcc, v4, v8
	v_addc_co_u32_e32 v5, vcc, 0, v5, vcc
.LBB12_100:
	s_or_b64 exec, exec, s[6:7]
.LBB12_101:
	s_or_b64 exec, exec, s[4:5]
	v_or_b32_e32 v8, 0xc0, v18
	v_cmp_gt_i32_e32 vcc, s13, v8
	s_and_saveexec_b64 s[4:5], vcc
	s_cbranch_execz .LBB12_125
; %bb.102:
	v_ashrrev_i32_e32 v9, 31, v8
	v_mul_lo_u32 v10, v8, s19
	v_mul_lo_u32 v11, v9, s18
	v_mad_u64_u32 v[8:9], s[6:7], v8, s18, 0
	v_add3_u32 v9, v9, v10, v11
	v_lshlrev_b64 v[8:9], 1, v[8:9]
	v_add_co_u32_e32 v8, vcc, v12, v8
	v_addc_co_u32_e32 v9, vcc, v13, v9, vcc
	v_lshlrev_b64 v[10:11], 1, v[18:19]
	v_mov_b32_e32 v13, s17
	v_add_co_u32_e32 v12, vcc, s16, v10
	v_addc_co_u32_e32 v13, vcc, v13, v11, vcc
	v_cmp_gt_i32_e32 vcc, s14, v16
	s_and_saveexec_b64 s[6:7], vcc
	s_cbranch_execz .LBB12_106
; %bb.103:
	s_andn2_b64 vcc, exec, s[2:3]
	v_pk_mov_b32 v[10:11], v[8:9], v[8:9] op_sel:[0,1]
	s_cbranch_vccnz .LBB12_105
; %bb.104:
	v_mad_u64_u32 v[10:11], s[2:3], v16, s18, 0
	v_mov_b32_e32 v14, v11
	v_mad_u64_u32 v[14:15], s[2:3], v16, s19, v[14:15]
	v_mov_b32_e32 v11, v14
	v_lshlrev_b64 v[10:11], 1, v[10:11]
	v_add_co_u32_e32 v10, vcc, v12, v10
	v_addc_co_u32_e32 v11, vcc, v13, v11, vcc
	v_add_co_u32_e32 v10, vcc, 0x180, v10
	v_addc_co_u32_e32 v11, vcc, 0, v11, vcc
.LBB12_105:
	global_load_ushort v10, v[10:11], off
	s_waitcnt vmcnt(0)
	v_and_b32_e32 v10, 0x7fff, v10
	v_cmp_ne_u16_e32 vcc, 0, v10
	v_cndmask_b32_e64 v10, 0, 1, vcc
	v_add_co_u32_e32 v6, vcc, v6, v10
	v_addc_co_u32_e32 v7, vcc, 0, v7, vcc
.LBB12_106:
	s_or_b64 exec, exec, s[6:7]
	v_or_b32_e32 v14, 1, v16
	v_cndmask_b32_e64 v10, 0, 1, s[0:1]
	v_cmp_gt_i32_e32 vcc, s14, v14
	v_cmp_ne_u32_e64 s[0:1], 1, v10
	s_and_saveexec_b64 s[2:3], vcc
	s_cbranch_execz .LBB12_112
; %bb.107:
	s_and_b64 vcc, exec, s[0:1]
	s_cbranch_vccnz .LBB12_109
; %bb.108:
	v_add_co_u32_e32 v10, vcc, 2, v8
	v_addc_co_u32_e32 v11, vcc, 0, v9, vcc
	s_cbranch_execz .LBB12_110
	s_branch .LBB12_111
.LBB12_109:
                                        ; implicit-def: $vgpr10_vgpr11
.LBB12_110:
	v_mad_u64_u32 v[10:11], s[6:7], v14, s18, 0
	v_mov_b32_e32 v18, v11
	v_mad_u64_u32 v[14:15], s[6:7], v14, s19, v[18:19]
	v_mov_b32_e32 v11, v14
	v_lshlrev_b64 v[10:11], 1, v[10:11]
	v_add_co_u32_e32 v10, vcc, v12, v10
	v_addc_co_u32_e32 v11, vcc, v13, v11, vcc
	v_add_co_u32_e32 v10, vcc, 0x180, v10
	v_addc_co_u32_e32 v11, vcc, 0, v11, vcc
.LBB12_111:
	global_load_ushort v10, v[10:11], off
	s_waitcnt vmcnt(0)
	v_and_b32_e32 v10, 0x7fff, v10
	v_cmp_ne_u16_e32 vcc, 0, v10
	v_cndmask_b32_e64 v10, 0, 1, vcc
	v_add_co_u32_e32 v6, vcc, v6, v10
	v_addc_co_u32_e32 v7, vcc, 0, v7, vcc
.LBB12_112:
	s_or_b64 exec, exec, s[2:3]
	v_or_b32_e32 v14, 2, v16
	v_cmp_gt_i32_e32 vcc, s14, v14
	s_and_saveexec_b64 s[2:3], vcc
	s_cbranch_execz .LBB12_118
; %bb.113:
	s_and_b64 vcc, exec, s[0:1]
	s_cbranch_vccnz .LBB12_115
; %bb.114:
	v_add_co_u32_e32 v10, vcc, 4, v8
	v_addc_co_u32_e32 v11, vcc, 0, v9, vcc
	s_cbranch_execz .LBB12_116
	s_branch .LBB12_117
.LBB12_115:
                                        ; implicit-def: $vgpr10_vgpr11
.LBB12_116:
	v_mad_u64_u32 v[10:11], s[6:7], v14, s18, 0
	v_mov_b32_e32 v18, v11
	v_mad_u64_u32 v[14:15], s[6:7], v14, s19, v[18:19]
	v_mov_b32_e32 v11, v14
	v_lshlrev_b64 v[10:11], 1, v[10:11]
	v_add_co_u32_e32 v10, vcc, v12, v10
	v_addc_co_u32_e32 v11, vcc, v13, v11, vcc
	v_add_co_u32_e32 v10, vcc, 0x180, v10
	v_addc_co_u32_e32 v11, vcc, 0, v11, vcc
.LBB12_117:
	global_load_ushort v10, v[10:11], off
	s_waitcnt vmcnt(0)
	v_and_b32_e32 v10, 0x7fff, v10
	v_cmp_ne_u16_e32 vcc, 0, v10
	v_cndmask_b32_e64 v10, 0, 1, vcc
	v_add_co_u32_e32 v6, vcc, v6, v10
	v_addc_co_u32_e32 v7, vcc, 0, v7, vcc
.LBB12_118:
	s_or_b64 exec, exec, s[2:3]
	v_or_b32_e32 v10, 3, v16
	v_cmp_gt_i32_e32 vcc, s14, v10
	s_and_saveexec_b64 s[2:3], vcc
	s_cbranch_execz .LBB12_124
; %bb.119:
	s_and_b64 vcc, exec, s[0:1]
	s_cbranch_vccnz .LBB12_121
; %bb.120:
	v_add_co_u32_e32 v8, vcc, 6, v8
	v_addc_co_u32_e32 v9, vcc, 0, v9, vcc
	s_cbranch_execz .LBB12_122
	s_branch .LBB12_123
.LBB12_121:
                                        ; implicit-def: $vgpr8_vgpr9
.LBB12_122:
	v_mad_u64_u32 v[8:9], s[0:1], v10, s18, 0
	v_mov_b32_e32 v14, v9
	v_mad_u64_u32 v[10:11], s[0:1], v10, s19, v[14:15]
	v_mov_b32_e32 v9, v10
	v_lshlrev_b64 v[8:9], 1, v[8:9]
	v_add_co_u32_e32 v8, vcc, v12, v8
	v_addc_co_u32_e32 v9, vcc, v13, v9, vcc
	v_add_co_u32_e32 v8, vcc, 0x180, v8
	v_addc_co_u32_e32 v9, vcc, 0, v9, vcc
.LBB12_123:
	global_load_ushort v8, v[8:9], off
	s_waitcnt vmcnt(0)
	v_and_b32_e32 v8, 0x7fff, v8
	v_cmp_ne_u16_e32 vcc, 0, v8
	v_cndmask_b32_e64 v8, 0, 1, vcc
	v_add_co_u32_e32 v6, vcc, v6, v8
	v_addc_co_u32_e32 v7, vcc, 0, v7, vcc
.LBB12_124:
	s_or_b64 exec, exec, s[2:3]
.LBB12_125:
	s_or_b64 exec, exec, s[4:5]
.LBB12_126:
	v_lshlrev_b32_e32 v8, 2, v33
	s_mov_b32 s0, 0x1fffff00
	v_and_or_b32 v8, v8, s0, v35
	s_movk_i32 s0, 0x100
	v_lshlrev_b32_e32 v8, 3, v8
	v_cmp_gt_u32_e32 vcc, s0, v33
	ds_write2st64_b64 v8, v[0:1], v[2:3] offset1:1
	ds_write2st64_b64 v8, v[4:5], v[6:7] offset0:2 offset1:3
	s_waitcnt lgkmcnt(0)
	s_barrier
	s_and_saveexec_b64 s[0:1], vcc
	s_cbranch_execz .LBB12_129
; %bb.127:
	v_lshlrev_b32_e32 v1, 3, v33
	ds_read2st64_b64 v[2:5], v1 offset1:4
	ds_read2st64_b64 v[6:9], v1 offset0:8 offset1:12
	v_add_u32_e32 v0, s15, v33
	s_waitcnt lgkmcnt(1)
	v_add_co_u32_e32 v2, vcc, v2, v4
	v_addc_co_u32_e32 v3, vcc, v3, v5, vcc
	s_waitcnt lgkmcnt(0)
	v_add_co_u32_e32 v6, vcc, v2, v6
	v_addc_co_u32_e32 v7, vcc, v3, v7, vcc
	ds_read2st64_b64 v[2:5], v1 offset0:16 offset1:20
	v_add_co_u32_e32 v6, vcc, v6, v8
	v_addc_co_u32_e32 v7, vcc, v7, v9, vcc
	s_waitcnt lgkmcnt(0)
	v_add_co_u32_e32 v2, vcc, v6, v2
	v_addc_co_u32_e32 v3, vcc, v7, v3, vcc
	ds_read2st64_b64 v[6:9], v1 offset0:24 offset1:28
	;; [unrolled: 6-line block ×6, first 2 shown]
	v_add_co_u32_e32 v2, vcc, v2, v4
	v_addc_co_u32_e32 v3, vcc, v3, v5, vcc
	s_waitcnt lgkmcnt(0)
	v_add_co_u32_e32 v2, vcc, v2, v6
	v_addc_co_u32_e32 v3, vcc, v3, v7, vcc
	v_add_co_u32_e32 v2, vcc, v2, v8
	v_addc_co_u32_e32 v3, vcc, v3, v9, vcc
	v_cmp_gt_i32_e32 vcc, s13, v0
	ds_write_b64 v1, v[2:3]
	s_and_b64 exec, exec, vcc
	s_cbranch_execz .LBB12_129
; %bb.128:
	v_ashrrev_i32_e32 v1, 31, v0
	v_lshlrev_b64 v[0:1], 3, v[0:1]
	v_mov_b32_e32 v4, s11
	v_add_co_u32_e32 v0, vcc, s10, v0
	v_addc_co_u32_e32 v1, vcc, v4, v1, vcc
	global_store_dwordx2 v[0:1], v[2:3], off
.LBB12_129:
	s_endpgm
	.section	.rodata,"a",@progbits
	.p2align	6, 0x0
	.amdhsa_kernel _ZN9rocsparseL14nnz_kernel_rowILi64ELi16Eli18rocsparse_bfloat16EEv16rocsparse_order_T2_S3_PKT3_lPT1_
		.amdhsa_group_segment_fixed_size 32768
		.amdhsa_private_segment_fixed_size 0
		.amdhsa_kernarg_size 296
		.amdhsa_user_sgpr_count 6
		.amdhsa_user_sgpr_private_segment_buffer 1
		.amdhsa_user_sgpr_dispatch_ptr 0
		.amdhsa_user_sgpr_queue_ptr 0
		.amdhsa_user_sgpr_kernarg_segment_ptr 1
		.amdhsa_user_sgpr_dispatch_id 0
		.amdhsa_user_sgpr_flat_scratch_init 0
		.amdhsa_user_sgpr_kernarg_preload_length 0
		.amdhsa_user_sgpr_kernarg_preload_offset 0
		.amdhsa_user_sgpr_private_segment_size 0
		.amdhsa_uses_dynamic_stack 0
		.amdhsa_system_sgpr_private_segment_wavefront_offset 0
		.amdhsa_system_sgpr_workgroup_id_x 1
		.amdhsa_system_sgpr_workgroup_id_y 0
		.amdhsa_system_sgpr_workgroup_id_z 0
		.amdhsa_system_sgpr_workgroup_info 0
		.amdhsa_system_vgpr_workitem_id 1
		.amdhsa_next_free_vgpr 42
		.amdhsa_next_free_sgpr 38
		.amdhsa_accum_offset 44
		.amdhsa_reserve_vcc 1
		.amdhsa_reserve_flat_scratch 0
		.amdhsa_float_round_mode_32 0
		.amdhsa_float_round_mode_16_64 0
		.amdhsa_float_denorm_mode_32 3
		.amdhsa_float_denorm_mode_16_64 3
		.amdhsa_dx10_clamp 1
		.amdhsa_ieee_mode 1
		.amdhsa_fp16_overflow 0
		.amdhsa_tg_split 0
		.amdhsa_exception_fp_ieee_invalid_op 0
		.amdhsa_exception_fp_denorm_src 0
		.amdhsa_exception_fp_ieee_div_zero 0
		.amdhsa_exception_fp_ieee_overflow 0
		.amdhsa_exception_fp_ieee_underflow 0
		.amdhsa_exception_fp_ieee_inexact 0
		.amdhsa_exception_int_div_zero 0
	.end_amdhsa_kernel
	.section	.text._ZN9rocsparseL14nnz_kernel_rowILi64ELi16Eli18rocsparse_bfloat16EEv16rocsparse_order_T2_S3_PKT3_lPT1_,"axG",@progbits,_ZN9rocsparseL14nnz_kernel_rowILi64ELi16Eli18rocsparse_bfloat16EEv16rocsparse_order_T2_S3_PKT3_lPT1_,comdat
.Lfunc_end12:
	.size	_ZN9rocsparseL14nnz_kernel_rowILi64ELi16Eli18rocsparse_bfloat16EEv16rocsparse_order_T2_S3_PKT3_lPT1_, .Lfunc_end12-_ZN9rocsparseL14nnz_kernel_rowILi64ELi16Eli18rocsparse_bfloat16EEv16rocsparse_order_T2_S3_PKT3_lPT1_
                                        ; -- End function
	.section	.AMDGPU.csdata,"",@progbits
; Kernel info:
; codeLenInByte = 5536
; NumSgprs: 42
; NumVgprs: 42
; NumAgprs: 0
; TotalNumVgprs: 42
; ScratchSize: 0
; MemoryBound: 0
; FloatMode: 240
; IeeeMode: 1
; LDSByteSize: 32768 bytes/workgroup (compile time only)
; SGPRBlocks: 5
; VGPRBlocks: 5
; NumSGPRsForWavesPerEU: 42
; NumVGPRsForWavesPerEU: 42
; AccumOffset: 44
; Occupancy: 8
; WaveLimiterHint : 0
; COMPUTE_PGM_RSRC2:SCRATCH_EN: 0
; COMPUTE_PGM_RSRC2:USER_SGPR: 6
; COMPUTE_PGM_RSRC2:TRAP_HANDLER: 0
; COMPUTE_PGM_RSRC2:TGID_X_EN: 1
; COMPUTE_PGM_RSRC2:TGID_Y_EN: 0
; COMPUTE_PGM_RSRC2:TGID_Z_EN: 0
; COMPUTE_PGM_RSRC2:TIDIG_COMP_CNT: 1
; COMPUTE_PGM_RSRC3_GFX90A:ACCUM_OFFSET: 10
; COMPUTE_PGM_RSRC3_GFX90A:TG_SPLIT: 0
	.section	.text._ZN9rocsparseL14nnz_kernel_colILi256Eli18rocsparse_bfloat16EEv16rocsparse_order_T1_S3_PKT2_lPT0_,"axG",@progbits,_ZN9rocsparseL14nnz_kernel_colILi256Eli18rocsparse_bfloat16EEv16rocsparse_order_T1_S3_PKT2_lPT0_,comdat
	.globl	_ZN9rocsparseL14nnz_kernel_colILi256Eli18rocsparse_bfloat16EEv16rocsparse_order_T1_S3_PKT2_lPT0_ ; -- Begin function _ZN9rocsparseL14nnz_kernel_colILi256Eli18rocsparse_bfloat16EEv16rocsparse_order_T1_S3_PKT2_lPT0_
	.p2align	8
	.type	_ZN9rocsparseL14nnz_kernel_colILi256Eli18rocsparse_bfloat16EEv16rocsparse_order_T1_S3_PKT2_lPT0_,@function
_ZN9rocsparseL14nnz_kernel_colILi256Eli18rocsparse_bfloat16EEv16rocsparse_order_T1_S3_PKT2_lPT0_: ; @_ZN9rocsparseL14nnz_kernel_colILi256Eli18rocsparse_bfloat16EEv16rocsparse_order_T1_S3_PKT2_lPT0_
; %bb.0:
	s_load_dwordx2 s[8:9], s[4:5], 0x0
	s_load_dwordx4 s[0:3], s[4:5], 0x10
	s_waitcnt lgkmcnt(0)
	s_ashr_i32 s7, s9, 31
	s_lshr_b32 s7, s7, 24
	s_add_i32 s7, s9, s7
	s_and_b32 s10, s7, 0xffffff00
	s_cmp_eq_u32 s8, 1
	s_cbranch_scc1 .LBB13_6
; %bb.1:
	s_cmpk_lt_i32 s9, 0x100
	v_pk_mov_b32 v[2:3], 0, 0
	s_cbranch_scc1 .LBB13_7
; %bb.2:
	v_mad_u64_u32 v[2:3], s[12:13], s2, v0, 0
	v_mov_b32_e32 v4, v3
	s_ashr_i32 s7, s6, 31
	v_mad_u64_u32 v[4:5], s[12:13], s3, v0, v[4:5]
	s_lshl_b64 s[12:13], s[6:7], 1
	v_mov_b32_e32 v3, v4
	s_add_u32 s7, s0, s12
	v_lshlrev_b64 v[2:3], 1, v[2:3]
	s_addc_u32 s8, s1, s13
	v_mov_b32_e32 v1, s8
	v_add_co_u32_e32 v4, vcc, s7, v2
	s_lshl_b64 s[12:13], s[2:3], 9
	v_addc_co_u32_e32 v5, vcc, v1, v3, vcc
	s_mov_b32 s7, 0
	v_pk_mov_b32 v[2:3], 0, 0
	v_mov_b32_e32 v1, s13
	s_branch .LBB13_4
.LBB13_3:                               ;   in Loop: Header=BB13_4 Depth=1
	s_or_b64 exec, exec, s[14:15]
	s_addk_i32 s7, 0x100
	v_add_co_u32_e32 v4, vcc, s12, v4
	s_cmp_ge_i32 s7, s10
	v_addc_co_u32_e32 v5, vcc, v5, v1, vcc
	s_cbranch_scc1 .LBB13_7
.LBB13_4:                               ; =>This Inner Loop Header: Depth=1
	v_add_u32_e32 v6, s7, v0
	v_cmp_gt_i32_e32 vcc, s9, v6
	s_and_saveexec_b64 s[14:15], vcc
	s_cbranch_execz .LBB13_3
; %bb.5:                                ;   in Loop: Header=BB13_4 Depth=1
	global_load_ushort v6, v[4:5], off
	s_waitcnt vmcnt(0)
	v_and_b32_e32 v6, 0x7fff, v6
	v_cmp_ne_u16_e32 vcc, 0, v6
	v_cndmask_b32_e64 v6, 0, 1, vcc
	v_add_co_u32_e32 v2, vcc, v2, v6
	v_addc_co_u32_e32 v3, vcc, 0, v3, vcc
	s_branch .LBB13_3
.LBB13_6:
	s_mov_b64 s[12:13], 0
                                        ; implicit-def: $vgpr2_vgpr3
                                        ; implicit-def: $vgpr4_vgpr5
	s_cbranch_execnz .LBB13_10
	s_branch .LBB13_16
.LBB13_7:
	v_add_u32_e32 v1, s10, v0
	v_cmp_gt_i32_e32 vcc, s9, v1
	s_mov_b64 s[14:15], 0
	s_mov_b64 s[12:13], 0
                                        ; implicit-def: $vgpr4_vgpr5
	s_and_saveexec_b64 s[16:17], vcc
	s_xor_b64 s[16:17], exec, s[16:17]
	s_cbranch_execz .LBB13_9
; %bb.8:
	v_ashrrev_i32_e32 v4, 31, v1
	s_ashr_i32 s7, s6, 31
	v_mul_lo_u32 v7, v4, s2
	v_mad_u64_u32 v[4:5], s[18:19], v1, s2, 0
	v_mul_lo_u32 v6, v1, s3
	s_lshl_b64 s[18:19], s[6:7], 1
	v_add3_u32 v5, v5, v6, v7
	s_add_u32 s7, s18, s0
	v_lshlrev_b64 v[4:5], 1, v[4:5]
	s_addc_u32 s8, s19, s1
	v_mov_b32_e32 v1, s8
	v_add_co_u32_e32 v4, vcc, s7, v4
	s_mov_b64 s[12:13], exec
	v_addc_co_u32_e32 v5, vcc, v1, v5, vcc
.LBB13_9:
	s_or_b64 exec, exec, s[16:17]
	s_and_b64 vcc, exec, s[14:15]
	s_cbranch_vccz .LBB13_16
.LBB13_10:
	s_ashr_i32 s7, s6, 31
	s_mul_i32 s3, s6, s3
	s_mul_hi_u32 s8, s6, s2
	s_add_i32 s3, s8, s3
	s_mul_i32 s7, s7, s2
	s_add_i32 s15, s3, s7
	s_mul_i32 s14, s6, s2
	v_cmp_gt_i32_e32 vcc, s9, v0
	s_lshl_b64 s[14:15], s[14:15], 1
	v_cndmask_b32_e32 v1, 0, v0, vcc
	s_add_u32 s0, s0, s14
	s_addc_u32 s1, s1, s15
	v_lshlrev_b32_e32 v1, 1, v1
	v_mov_b32_e32 v2, s1
	v_add_co_u32_e32 v6, vcc, s0, v1
	s_mov_b32 s2, 0
	v_addc_co_u32_e32 v7, vcc, 0, v2, vcc
	s_cmpk_lt_i32 s9, 0x100
	v_pk_mov_b32 v[2:3], 0, 0
	s_cbranch_scc1 .LBB13_13
; %bb.11:
	v_pk_mov_b32 v[2:3], 0, 0
	v_pk_mov_b32 v[4:5], v[6:7], v[6:7] op_sel:[0,1]
.LBB13_12:                              ; =>This Inner Loop Header: Depth=1
	global_load_ushort v1, v[4:5], off
	v_add_co_u32_e32 v4, vcc, 0x200, v4
	v_addc_co_u32_e32 v5, vcc, 0, v5, vcc
	s_addk_i32 s2, 0x100
	s_cmp_ge_i32 s2, s10
	s_waitcnt vmcnt(0)
	v_and_b32_e32 v1, 0x7fff, v1
	v_cmp_ne_u16_e32 vcc, 0, v1
	v_cndmask_b32_e64 v1, 0, 1, vcc
	v_add_co_u32_e32 v2, vcc, v2, v1
	v_addc_co_u32_e32 v3, vcc, 0, v3, vcc
	s_cbranch_scc0 .LBB13_12
.LBB13_13:
	v_add_u32_e32 v1, s10, v0
	v_cmp_gt_i32_e32 vcc, s9, v1
                                        ; implicit-def: $vgpr4_vgpr5
	s_and_saveexec_b64 s[0:1], vcc
; %bb.14:
	s_ashr_i32 s11, s10, 31
	s_lshl_b64 s[2:3], s[10:11], 1
	v_mov_b32_e32 v1, s3
	v_add_co_u32_e32 v4, vcc, s2, v6
	v_addc_co_u32_e32 v5, vcc, v7, v1, vcc
	s_or_b64 s[12:13], s[12:13], exec
; %bb.15:
	s_or_b64 exec, exec, s[0:1]
.LBB13_16:
	s_and_saveexec_b64 s[0:1], s[12:13]
	s_cbranch_execz .LBB13_18
; %bb.17:
	global_load_ushort v1, v[4:5], off
	s_waitcnt vmcnt(0)
	v_and_b32_e32 v1, 0x7fff, v1
	v_cmp_ne_u16_e32 vcc, 0, v1
	v_cndmask_b32_e64 v1, 0, 1, vcc
	v_add_co_u32_e32 v2, vcc, v2, v1
	v_addc_co_u32_e32 v3, vcc, 0, v3, vcc
.LBB13_18:
	s_or_b64 exec, exec, s[0:1]
	v_lshlrev_b32_e32 v1, 3, v0
	s_cmpk_lt_i32 s9, 0x100
	s_mov_b64 s[0:1], -1
	v_cmp_eq_u32_e32 vcc, 0, v0
	ds_write_b64 v1, v[2:3]
	s_waitcnt lgkmcnt(0)
	s_cbranch_scc1 .LBB13_22
; %bb.19:
	s_and_b64 vcc, exec, s[0:1]
	s_cbranch_vccnz .LBB13_32
.LBB13_20:
	v_cmp_eq_u32_e32 vcc, 0, v0
	s_and_saveexec_b64 s[0:1], vcc
	s_cbranch_execnz .LBB13_49
.LBB13_21:
	s_endpgm
.LBB13_22:
	s_cmp_gt_i32 s9, 1
	s_cselect_b64 s[0:1], -1, 0
	s_mov_b32 s3, 1
	s_and_b64 s[10:11], vcc, s[0:1]
	s_barrier
	s_and_saveexec_b64 s[0:1], s[10:11]
	s_cbranch_execz .LBB13_31
; %bb.23:
	v_mov_b32_e32 v2, 0
	ds_read_b64 v[2:3], v2
	s_add_i32 s2, s9, -1
	s_add_i32 s7, s9, -2
	s_cmp_lt_u32 s7, 7
	s_cbranch_scc1 .LBB13_27
; %bb.24:
	s_and_b32 s3, s2, -8
	s_mov_b32 s8, 0
	s_mov_b32 s7, 8
.LBB13_25:                              ; =>This Inner Loop Header: Depth=1
	v_mov_b32_e32 v16, s7
	ds_read2_b64 v[4:7], v16 offset1:1
	ds_read2_b64 v[8:11], v16 offset0:2 offset1:3
	ds_read2_b64 v[12:15], v16 offset0:4 offset1:5
	;; [unrolled: 1-line block ×3, first 2 shown]
	s_mov_b32 s9, s8
	s_waitcnt lgkmcnt(3)
	v_add_co_u32_e32 v2, vcc, v2, v4
	v_addc_co_u32_e32 v3, vcc, v3, v5, vcc
	v_add_co_u32_e32 v2, vcc, v2, v6
	v_addc_co_u32_e32 v3, vcc, v3, v7, vcc
	s_waitcnt lgkmcnt(2)
	v_add_co_u32_e32 v2, vcc, v2, v8
	v_addc_co_u32_e32 v3, vcc, v3, v9, vcc
	v_add_co_u32_e32 v2, vcc, v2, v10
	v_addc_co_u32_e32 v3, vcc, v3, v11, vcc
	;; [unrolled: 5-line block ×3, first 2 shown]
	s_waitcnt lgkmcnt(0)
	v_add_co_u32_e32 v2, vcc, v2, v16
	v_addc_co_u32_e32 v3, vcc, v3, v17, vcc
	s_add_i32 s7, s7, 64
	s_add_i32 s8, s8, 8
	v_add_co_u32_e32 v2, vcc, v2, v18
	s_cmp_lg_u32 s3, s8
	v_addc_co_u32_e32 v3, vcc, v3, v19, vcc
	s_cbranch_scc1 .LBB13_25
; %bb.26:
	s_add_i32 s3, s9, 9
.LBB13_27:
	s_and_b32 s2, s2, 7
	s_cmp_eq_u32 s2, 0
	s_cbranch_scc1 .LBB13_30
; %bb.28:
	s_lshl_b32 s3, s3, 3
.LBB13_29:                              ; =>This Inner Loop Header: Depth=1
	v_mov_b32_e32 v4, s3
	ds_read_b64 v[4:5], v4
	s_add_i32 s3, s3, 8
	s_add_i32 s2, s2, -1
	s_cmp_lg_u32 s2, 0
	s_waitcnt lgkmcnt(0)
	v_add_co_u32_e32 v2, vcc, v2, v4
	v_addc_co_u32_e32 v3, vcc, v3, v5, vcc
	s_cbranch_scc1 .LBB13_29
.LBB13_30:
	v_mov_b32_e32 v4, 0
	s_waitcnt lgkmcnt(0)
	ds_write_b64 v4, v[2:3]
.LBB13_31:
	s_or_b64 exec, exec, s[0:1]
	s_waitcnt lgkmcnt(0)
	s_barrier
	s_branch .LBB13_20
.LBB13_32:
	s_movk_i32 s0, 0x80
	v_cmp_gt_u32_e32 vcc, s0, v0
	s_barrier
	s_and_saveexec_b64 s[0:1], vcc
	s_cbranch_execz .LBB13_34
; %bb.33:
	ds_read2st64_b64 v[2:5], v1 offset1:2
	s_waitcnt lgkmcnt(0)
	v_add_co_u32_e32 v2, vcc, v2, v4
	v_addc_co_u32_e32 v3, vcc, v3, v5, vcc
	ds_write_b64 v1, v[2:3]
.LBB13_34:
	s_or_b64 exec, exec, s[0:1]
	v_cmp_gt_u32_e32 vcc, 64, v0
	s_waitcnt lgkmcnt(0)
	s_barrier
	s_and_saveexec_b64 s[0:1], vcc
	s_cbranch_execz .LBB13_36
; %bb.35:
	ds_read2st64_b64 v[2:5], v1 offset1:1
	s_waitcnt lgkmcnt(0)
	v_add_co_u32_e32 v2, vcc, v2, v4
	v_addc_co_u32_e32 v3, vcc, v3, v5, vcc
	ds_write_b64 v1, v[2:3]
.LBB13_36:
	s_or_b64 exec, exec, s[0:1]
	v_cmp_gt_u32_e32 vcc, 32, v0
	s_waitcnt lgkmcnt(0)
	s_barrier
	s_and_saveexec_b64 s[0:1], vcc
	s_cbranch_execz .LBB13_38
; %bb.37:
	ds_read2_b64 v[2:5], v1 offset1:32
	s_waitcnt lgkmcnt(0)
	v_add_co_u32_e32 v2, vcc, v2, v4
	v_addc_co_u32_e32 v3, vcc, v3, v5, vcc
	ds_write_b64 v1, v[2:3]
.LBB13_38:
	s_or_b64 exec, exec, s[0:1]
	v_cmp_gt_u32_e32 vcc, 16, v0
	s_waitcnt lgkmcnt(0)
	s_barrier
	s_and_saveexec_b64 s[0:1], vcc
	s_cbranch_execz .LBB13_40
; %bb.39:
	ds_read2_b64 v[2:5], v1 offset1:16
	s_waitcnt lgkmcnt(0)
	v_add_co_u32_e32 v2, vcc, v2, v4
	v_addc_co_u32_e32 v3, vcc, v3, v5, vcc
	ds_write_b64 v1, v[2:3]
.LBB13_40:
	;; [unrolled: 13-line block ×5, first 2 shown]
	s_or_b64 exec, exec, s[0:1]
	v_cmp_eq_u32_e32 vcc, 0, v0
	s_waitcnt lgkmcnt(0)
	s_barrier
	s_and_saveexec_b64 s[0:1], vcc
	s_cbranch_execz .LBB13_48
; %bb.47:
	v_mov_b32_e32 v1, 0
	ds_read_b128 v[2:5], v1
	s_waitcnt lgkmcnt(0)
	v_add_co_u32_e32 v2, vcc, v2, v4
	v_addc_co_u32_e32 v3, vcc, v3, v5, vcc
	ds_write_b64 v1, v[2:3]
.LBB13_48:
	s_or_b64 exec, exec, s[0:1]
	s_waitcnt lgkmcnt(0)
	s_barrier
	v_cmp_eq_u32_e32 vcc, 0, v0
	s_and_saveexec_b64 s[0:1], vcc
	s_cbranch_execz .LBB13_21
.LBB13_49:
	s_load_dwordx2 s[0:1], s[4:5], 0x20
	v_mov_b32_e32 v2, 0
	ds_read_b64 v[0:1], v2
	s_ashr_i32 s7, s6, 31
	s_lshl_b64 s[2:3], s[6:7], 3
	s_waitcnt lgkmcnt(0)
	s_add_u32 s0, s0, s2
	s_addc_u32 s1, s1, s3
	global_store_dwordx2 v2, v[0:1], s[0:1]
	s_endpgm
	.section	.rodata,"a",@progbits
	.p2align	6, 0x0
	.amdhsa_kernel _ZN9rocsparseL14nnz_kernel_colILi256Eli18rocsparse_bfloat16EEv16rocsparse_order_T1_S3_PKT2_lPT0_
		.amdhsa_group_segment_fixed_size 2048
		.amdhsa_private_segment_fixed_size 0
		.amdhsa_kernarg_size 40
		.amdhsa_user_sgpr_count 6
		.amdhsa_user_sgpr_private_segment_buffer 1
		.amdhsa_user_sgpr_dispatch_ptr 0
		.amdhsa_user_sgpr_queue_ptr 0
		.amdhsa_user_sgpr_kernarg_segment_ptr 1
		.amdhsa_user_sgpr_dispatch_id 0
		.amdhsa_user_sgpr_flat_scratch_init 0
		.amdhsa_user_sgpr_kernarg_preload_length 0
		.amdhsa_user_sgpr_kernarg_preload_offset 0
		.amdhsa_user_sgpr_private_segment_size 0
		.amdhsa_uses_dynamic_stack 0
		.amdhsa_system_sgpr_private_segment_wavefront_offset 0
		.amdhsa_system_sgpr_workgroup_id_x 1
		.amdhsa_system_sgpr_workgroup_id_y 0
		.amdhsa_system_sgpr_workgroup_id_z 0
		.amdhsa_system_sgpr_workgroup_info 0
		.amdhsa_system_vgpr_workitem_id 0
		.amdhsa_next_free_vgpr 20
		.amdhsa_next_free_sgpr 20
		.amdhsa_accum_offset 20
		.amdhsa_reserve_vcc 1
		.amdhsa_reserve_flat_scratch 0
		.amdhsa_float_round_mode_32 0
		.amdhsa_float_round_mode_16_64 0
		.amdhsa_float_denorm_mode_32 3
		.amdhsa_float_denorm_mode_16_64 3
		.amdhsa_dx10_clamp 1
		.amdhsa_ieee_mode 1
		.amdhsa_fp16_overflow 0
		.amdhsa_tg_split 0
		.amdhsa_exception_fp_ieee_invalid_op 0
		.amdhsa_exception_fp_denorm_src 0
		.amdhsa_exception_fp_ieee_div_zero 0
		.amdhsa_exception_fp_ieee_overflow 0
		.amdhsa_exception_fp_ieee_underflow 0
		.amdhsa_exception_fp_ieee_inexact 0
		.amdhsa_exception_int_div_zero 0
	.end_amdhsa_kernel
	.section	.text._ZN9rocsparseL14nnz_kernel_colILi256Eli18rocsparse_bfloat16EEv16rocsparse_order_T1_S3_PKT2_lPT0_,"axG",@progbits,_ZN9rocsparseL14nnz_kernel_colILi256Eli18rocsparse_bfloat16EEv16rocsparse_order_T1_S3_PKT2_lPT0_,comdat
.Lfunc_end13:
	.size	_ZN9rocsparseL14nnz_kernel_colILi256Eli18rocsparse_bfloat16EEv16rocsparse_order_T1_S3_PKT2_lPT0_, .Lfunc_end13-_ZN9rocsparseL14nnz_kernel_colILi256Eli18rocsparse_bfloat16EEv16rocsparse_order_T1_S3_PKT2_lPT0_
                                        ; -- End function
	.section	.AMDGPU.csdata,"",@progbits
; Kernel info:
; codeLenInByte = 1460
; NumSgprs: 24
; NumVgprs: 20
; NumAgprs: 0
; TotalNumVgprs: 20
; ScratchSize: 0
; MemoryBound: 0
; FloatMode: 240
; IeeeMode: 1
; LDSByteSize: 2048 bytes/workgroup (compile time only)
; SGPRBlocks: 2
; VGPRBlocks: 2
; NumSGPRsForWavesPerEU: 24
; NumVGPRsForWavesPerEU: 20
; AccumOffset: 20
; Occupancy: 8
; WaveLimiterHint : 0
; COMPUTE_PGM_RSRC2:SCRATCH_EN: 0
; COMPUTE_PGM_RSRC2:USER_SGPR: 6
; COMPUTE_PGM_RSRC2:TRAP_HANDLER: 0
; COMPUTE_PGM_RSRC2:TGID_X_EN: 1
; COMPUTE_PGM_RSRC2:TGID_Y_EN: 0
; COMPUTE_PGM_RSRC2:TGID_Z_EN: 0
; COMPUTE_PGM_RSRC2:TIDIG_COMP_CNT: 0
; COMPUTE_PGM_RSRC3_GFX90A:ACCUM_OFFSET: 4
; COMPUTE_PGM_RSRC3_GFX90A:TG_SPLIT: 0
	.section	.text._ZN9rocsparseL14nnz_kernel_rowILi64ELi16EliDF16_EEv16rocsparse_order_T2_S2_PKT3_lPT1_,"axG",@progbits,_ZN9rocsparseL14nnz_kernel_rowILi64ELi16EliDF16_EEv16rocsparse_order_T2_S2_PKT3_lPT1_,comdat
	.globl	_ZN9rocsparseL14nnz_kernel_rowILi64ELi16EliDF16_EEv16rocsparse_order_T2_S2_PKT3_lPT1_ ; -- Begin function _ZN9rocsparseL14nnz_kernel_rowILi64ELi16EliDF16_EEv16rocsparse_order_T2_S2_PKT3_lPT1_
	.p2align	8
	.type	_ZN9rocsparseL14nnz_kernel_rowILi64ELi16EliDF16_EEv16rocsparse_order_T2_S2_PKT3_lPT1_,@function
_ZN9rocsparseL14nnz_kernel_rowILi64ELi16EliDF16_EEv16rocsparse_order_T2_S2_PKT3_lPT1_: ; @_ZN9rocsparseL14nnz_kernel_rowILi64ELi16EliDF16_EEv16rocsparse_order_T2_S2_PKT3_lPT1_
; %bb.0:
	s_load_dword s0, s[4:5], 0x34
	s_load_dwordx2 s[10:11], s[4:5], 0x20
	s_load_dwordx8 s[12:19], s[4:5], 0x0
	v_and_b32_e32 v1, 0x3ff, v0
	v_bfe_u32 v0, v0, 10, 10
	s_waitcnt lgkmcnt(0)
	s_and_b32 s0, s0, 0xffff
	v_mad_u32_u24 v33, v0, s0, v1
	s_ashr_i32 s0, s14, 31
	s_lshr_b32 s0, s0, 26
	s_mov_b32 s20, 0
	v_and_b32_e32 v35, 63, v33
	s_lshl_b32 s15, s6, 8
	s_add_i32 s33, s14, s0
	v_lshrrev_b32_e32 v0, 4, v33
	s_mov_b32 s21, s20
	v_or_b32_e32 v18, s15, v35
	s_andn2_b32 s33, s33, 63
	v_and_b32_e32 v16, 0x7ffffc, v0
	s_mov_b32 s22, s20
	s_mov_b32 s23, s20
	;; [unrolled: 1-line block ×6, first 2 shown]
	v_pk_mov_b32 v[0:1], s[20:21], s[20:21] op_sel:[0,1]
	v_cmp_gt_i32_e32 vcc, s33, v16
	v_pk_mov_b32 v[2:3], s[22:23], s[22:23] op_sel:[0,1]
	v_pk_mov_b32 v[4:5], s[24:25], s[24:25] op_sel:[0,1]
	;; [unrolled: 1-line block ×3, first 2 shown]
	v_or_b32_e32 v36, 64, v18
	s_and_saveexec_b64 s[28:29], vcc
	s_cbranch_execz .LBB14_28
; %bb.1:
	v_or_b32_e32 v0, 0x80, v18
	v_cmp_gt_i32_e64 s[4:5], s13, v0
	v_or_b32_e32 v0, 0xc0, v18
	v_cmp_gt_i32_e64 s[6:7], s13, v0
	v_add_u32_e32 v0, s15, v35
	v_ashrrev_i32_e32 v1, 31, v0
	v_mul_lo_u32 v4, s18, v1
	v_mul_lo_u32 v5, s19, v0
	v_mad_u64_u32 v[2:3], s[8:9], s18, v0, 0
	v_add3_u32 v3, v3, v4, v5
	v_lshrrev_b32_e32 v8, 6, v33
	v_lshlrev_b64 v[2:3], 1, v[2:3]
	v_lshlrev_b32_e32 v9, 3, v8
	v_lshlrev_b32_e32 v10, 2, v8
	v_add_co_u32_e32 v20, vcc, v2, v9
	v_or_b32_e32 v5, 3, v10
	v_addc_co_u32_e32 v17, vcc, 0, v3, vcc
	v_mad_u64_u32 v[2:3], s[8:9], s18, v5, 0
	v_mov_b32_e32 v4, v3
	v_mad_u64_u32 v[4:5], s[8:9], s19, v5, v[4:5]
	v_mov_b32_e32 v3, v4
	v_lshlrev_b64 v[2:3], 1, v[2:3]
	v_lshlrev_b64 v[4:5], 1, v[0:1]
	v_add_u32_e32 v1, 64, v0
	v_add_co_u32_e32 v22, vcc, v2, v4
	v_ashrrev_i32_e32 v2, 31, v1
	v_addc_co_u32_e32 v19, vcc, v3, v5, vcc
	v_mul_lo_u32 v6, s18, v2
	v_mul_lo_u32 v7, s19, v1
	v_mad_u64_u32 v[2:3], s[8:9], s18, v1, 0
	v_add3_u32 v3, v3, v6, v7
	v_lshlrev_b64 v[2:3], 1, v[2:3]
	v_add_co_u32_e32 v24, vcc, v2, v9
	v_or_b32_e32 v1, 2, v10
	v_addc_co_u32_e32 v21, vcc, 0, v3, vcc
	v_mad_u64_u32 v[2:3], s[8:9], s18, v1, 0
	v_mov_b32_e32 v6, v3
	v_mad_u64_u32 v[6:7], s[8:9], s19, v1, v[6:7]
	v_mov_b32_e32 v3, v6
	v_lshlrev_b64 v[2:3], 1, v[2:3]
	v_add_u32_e32 v1, 0x80, v0
	v_add_co_u32_e32 v26, vcc, v2, v4
	v_ashrrev_i32_e32 v2, 31, v1
	v_addc_co_u32_e32 v23, vcc, v3, v5, vcc
	v_mul_lo_u32 v6, s18, v2
	v_mul_lo_u32 v7, s19, v1
	v_mad_u64_u32 v[2:3], s[8:9], s18, v1, 0
	v_add3_u32 v3, v3, v6, v7
	v_lshlrev_b64 v[2:3], 1, v[2:3]
	v_add_co_u32_e32 v28, vcc, v2, v9
	v_addc_co_u32_e32 v25, vcc, 0, v3, vcc
	v_pk_mov_b32 v[2:3], s[18:19], s[18:19] op_sel:[0,1]
	v_mad_u64_u32 v[2:3], s[8:9], s18, v10, v[2:3]
	v_mov_b32_e32 v6, v3
	v_mad_u64_u32 v[6:7], s[8:9], s19, v10, v[6:7]
	v_mov_b32_e32 v3, v6
	v_lshlrev_b64 v[2:3], 1, v[2:3]
	v_add_u32_e32 v0, 0xc0, v0
	v_add_co_u32_e32 v30, vcc, v2, v4
	v_ashrrev_i32_e32 v1, 31, v0
	v_addc_co_u32_e32 v27, vcc, v3, v5, vcc
	v_mul_lo_u32 v2, s18, v1
	v_mul_lo_u32 v3, s19, v0
	v_mad_u64_u32 v[0:1], s[8:9], s18, v0, 0
	v_add3_u32 v1, v1, v2, v3
	v_lshlrev_b64 v[0:1], 1, v[0:1]
	v_add_co_u32_e32 v32, vcc, v0, v9
	v_addc_co_u32_e32 v29, vcc, 0, v1, vcc
	v_mad_u64_u32 v[0:1], s[8:9], s18, v8, 0
	v_mov_b32_e32 v2, v1
	v_mad_u64_u32 v[2:3], s[8:9], s19, v8, v[2:3]
	v_mov_b32_e32 v1, v2
	v_lshlrev_b64 v[0:1], 3, v[0:1]
	v_add_co_u32_e32 v34, vcc, v0, v4
	s_cmp_lg_u32 s12, 1
	v_addc_co_u32_e32 v31, vcc, v1, v5, vcc
	v_pk_mov_b32 v[0:1], s[20:21], s[20:21] op_sel:[0,1]
	s_cselect_b64 s[30:31], -1, 0
	v_cmp_gt_i32_e64 s[0:1], s13, v18
	v_cmp_gt_i32_e64 s[2:3], s13, v36
	s_lshl_b64 s[34:35], s[18:19], 7
	s_mov_b64 s[36:37], 0
	v_pk_mov_b32 v[2:3], s[22:23], s[22:23] op_sel:[0,1]
	v_pk_mov_b32 v[4:5], s[24:25], s[24:25] op_sel:[0,1]
	;; [unrolled: 1-line block ×3, first 2 shown]
	v_mov_b32_e32 v37, 0
	s_branch .LBB14_4
.LBB14_2:                               ;   in Loop: Header=BB14_4 Depth=1
	v_pk_mov_b32 v[0:1], v[8:9], v[8:9] op_sel:[0,1]
	v_pk_mov_b32 v[2:3], v[10:11], v[10:11] op_sel:[0,1]
	;; [unrolled: 1-line block ×4, first 2 shown]
.LBB14_3:                               ;   in Loop: Header=BB14_4 Depth=1
	s_or_b64 exec, exec, s[20:21]
	v_add_co_u32_e32 v20, vcc, 0x80, v20
	v_addc_co_u32_e32 v17, vcc, 0, v17, vcc
	v_mov_b32_e32 v8, s35
	v_add_co_u32_e32 v22, vcc, s34, v22
	v_addc_co_u32_e32 v19, vcc, v19, v8, vcc
	v_add_co_u32_e32 v24, vcc, 0x80, v24
	v_addc_co_u32_e32 v21, vcc, 0, v21, vcc
	;; [unrolled: 2-line block ×5, first 2 shown]
	v_add_co_u32_e32 v32, vcc, 0x80, v32
	v_add_u32_e32 v16, 64, v16
	v_addc_co_u32_e32 v29, vcc, 0, v29, vcc
	v_cmp_le_i32_e32 vcc, s33, v16
	s_or_b64 s[36:37], vcc, s[36:37]
	v_add_co_u32_e32 v34, vcc, s34, v34
	v_addc_co_u32_e32 v31, vcc, v31, v8, vcc
	s_andn2_b64 exec, exec, s[36:37]
	s_cbranch_execz .LBB14_27
.LBB14_4:                               ; =>This Inner Loop Header: Depth=1
	v_cndmask_b32_e64 v8, 0, 1, s[30:31]
	v_cmp_ne_u32_e64 s[8:9], 1, v8
	s_and_saveexec_b64 s[20:21], s[0:1]
	s_cbranch_execnz .LBB14_8
; %bb.5:                                ;   in Loop: Header=BB14_4 Depth=1
	s_or_b64 exec, exec, s[20:21]
	s_and_saveexec_b64 s[20:21], s[2:3]
	s_cbranch_execnz .LBB14_13
.LBB14_6:                               ;   in Loop: Header=BB14_4 Depth=1
	s_or_b64 exec, exec, s[20:21]
	s_and_saveexec_b64 s[20:21], s[4:5]
	s_cbranch_execnz .LBB14_18
.LBB14_7:                               ;   in Loop: Header=BB14_4 Depth=1
	s_or_b64 exec, exec, s[20:21]
	s_and_saveexec_b64 s[20:21], s[6:7]
	s_cbranch_execz .LBB14_3
	s_branch .LBB14_23
.LBB14_8:                               ;   in Loop: Header=BB14_4 Depth=1
	s_and_b64 vcc, exec, s[8:9]
	s_cbranch_vccnz .LBB14_10
; %bb.9:                                ;   in Loop: Header=BB14_4 Depth=1
	v_mov_b32_e32 v9, s17
	v_add_co_u32_e32 v8, vcc, s16, v20
	v_addc_co_u32_e32 v9, vcc, v9, v17, vcc
	global_load_dwordx2 v[8:9], v[8:9], off
	v_add_co_u32_e32 v38, vcc, 1, v0
	v_addc_co_u32_e32 v39, vcc, 0, v1, vcc
	v_mov_b32_e32 v10, v2
	v_mov_b32_e32 v11, v3
	;; [unrolled: 1-line block ×6, first 2 shown]
	s_waitcnt vmcnt(0)
	v_cmp_neq_f16_e32 vcc, 0, v8
	v_cndmask_b32_e32 v38, v0, v38, vcc
	v_cndmask_b32_e32 v39, v1, v39, vcc
	v_add_co_u32_e32 v40, vcc, 1, v38
	v_addc_co_u32_e32 v41, vcc, 0, v39, vcc
	v_cmp_neq_f16_sdwa vcc, v8, v37 src0_sel:WORD_1 src1_sel:DWORD
	v_cndmask_b32_e32 v38, v38, v40, vcc
	v_cndmask_b32_e32 v8, v39, v41, vcc
	v_add_co_u32_e32 v39, vcc, 1, v38
	v_addc_co_u32_e32 v40, vcc, 0, v8, vcc
	v_cmp_neq_f16_e32 vcc, 0, v9
	v_cndmask_b32_e32 v38, v38, v39, vcc
	v_cndmask_b32_e32 v8, v8, v40, vcc
	v_add_co_u32_e32 v39, vcc, 1, v38
	v_addc_co_u32_e32 v40, vcc, 0, v8, vcc
	v_cmp_neq_f16_sdwa vcc, v9, v37 src0_sel:WORD_1 src1_sel:DWORD
	v_cndmask_b32_e32 v9, v8, v40, vcc
	v_cndmask_b32_e32 v8, v38, v39, vcc
	s_cbranch_execz .LBB14_11
	s_branch .LBB14_12
.LBB14_10:                              ;   in Loop: Header=BB14_4 Depth=1
                                        ; implicit-def: $vgpr8_vgpr9_vgpr10_vgpr11_vgpr12_vgpr13_vgpr14_vgpr15
.LBB14_11:                              ;   in Loop: Header=BB14_4 Depth=1
	v_mov_b32_e32 v10, s17
	v_add_co_u32_e32 v8, vcc, s16, v34
	v_addc_co_u32_e32 v9, vcc, v10, v31, vcc
	global_load_ushort v11, v[8:9], off
	v_add_co_u32_e32 v8, vcc, s16, v30
	v_addc_co_u32_e32 v9, vcc, v10, v27, vcc
	global_load_ushort v12, v[8:9], off
	;; [unrolled: 3-line block ×4, first 2 shown]
	v_add_co_u32_e32 v9, vcc, 1, v0
	v_addc_co_u32_e32 v10, vcc, 0, v1, vcc
	s_waitcnt vmcnt(3)
	v_cmp_neq_f16_e32 vcc, 0, v11
	v_cndmask_b32_e32 v0, v0, v9, vcc
	v_cndmask_b32_e32 v1, v1, v10, vcc
	v_add_co_u32_e32 v9, vcc, 1, v0
	v_addc_co_u32_e32 v10, vcc, 0, v1, vcc
	s_waitcnt vmcnt(2)
	v_cmp_neq_f16_e32 vcc, 0, v12
	v_cndmask_b32_e32 v0, v0, v9, vcc
	v_cndmask_b32_e32 v1, v1, v10, vcc
	;; [unrolled: 6-line block ×4, first 2 shown]
	v_pk_mov_b32 v[14:15], v[6:7], v[6:7] op_sel:[0,1]
	v_pk_mov_b32 v[12:13], v[4:5], v[4:5] op_sel:[0,1]
	;; [unrolled: 1-line block ×4, first 2 shown]
.LBB14_12:                              ;   in Loop: Header=BB14_4 Depth=1
	v_pk_mov_b32 v[0:1], v[8:9], v[8:9] op_sel:[0,1]
	v_pk_mov_b32 v[2:3], v[10:11], v[10:11] op_sel:[0,1]
	;; [unrolled: 1-line block ×4, first 2 shown]
	s_or_b64 exec, exec, s[20:21]
	s_and_saveexec_b64 s[20:21], s[2:3]
	s_cbranch_execz .LBB14_6
.LBB14_13:                              ;   in Loop: Header=BB14_4 Depth=1
	s_and_b64 vcc, exec, s[8:9]
	s_cbranch_vccnz .LBB14_15
; %bb.14:                               ;   in Loop: Header=BB14_4 Depth=1
	v_mov_b32_e32 v9, s17
	v_add_co_u32_e32 v8, vcc, s16, v24
	v_addc_co_u32_e32 v9, vcc, v9, v21, vcc
	global_load_dwordx2 v[10:11], v[8:9], off
	v_add_co_u32_e32 v38, vcc, 1, v2
	v_addc_co_u32_e32 v39, vcc, 0, v3, vcc
	v_mov_b32_e32 v8, v0
	v_mov_b32_e32 v9, v1
	;; [unrolled: 1-line block ×6, first 2 shown]
	s_waitcnt vmcnt(0)
	v_cmp_neq_f16_e32 vcc, 0, v10
	v_cndmask_b32_e32 v38, v2, v38, vcc
	v_cndmask_b32_e32 v39, v3, v39, vcc
	v_add_co_u32_e32 v40, vcc, 1, v38
	v_addc_co_u32_e32 v41, vcc, 0, v39, vcc
	v_cmp_neq_f16_sdwa vcc, v10, v37 src0_sel:WORD_1 src1_sel:DWORD
	v_cndmask_b32_e32 v38, v38, v40, vcc
	v_cndmask_b32_e32 v10, v39, v41, vcc
	v_add_co_u32_e32 v39, vcc, 1, v38
	v_addc_co_u32_e32 v40, vcc, 0, v10, vcc
	v_cmp_neq_f16_e32 vcc, 0, v11
	v_cndmask_b32_e32 v38, v38, v39, vcc
	v_cndmask_b32_e32 v10, v10, v40, vcc
	v_add_co_u32_e32 v39, vcc, 1, v38
	v_addc_co_u32_e32 v40, vcc, 0, v10, vcc
	v_cmp_neq_f16_sdwa vcc, v11, v37 src0_sel:WORD_1 src1_sel:DWORD
	v_cndmask_b32_e32 v11, v10, v40, vcc
	v_cndmask_b32_e32 v10, v38, v39, vcc
	s_cbranch_execz .LBB14_16
	s_branch .LBB14_17
.LBB14_15:                              ;   in Loop: Header=BB14_4 Depth=1
                                        ; implicit-def: $vgpr8_vgpr9_vgpr10_vgpr11_vgpr12_vgpr13_vgpr14_vgpr15
.LBB14_16:                              ;   in Loop: Header=BB14_4 Depth=1
	v_mov_b32_e32 v10, s17
	v_add_co_u32_e32 v8, vcc, s16, v34
	v_addc_co_u32_e32 v9, vcc, v10, v31, vcc
	global_load_ushort v11, v[8:9], off offset:128
	v_add_co_u32_e32 v8, vcc, s16, v30
	v_addc_co_u32_e32 v9, vcc, v10, v27, vcc
	global_load_ushort v12, v[8:9], off offset:128
	;; [unrolled: 3-line block ×4, first 2 shown]
	v_add_co_u32_e32 v9, vcc, 1, v2
	v_addc_co_u32_e32 v10, vcc, 0, v3, vcc
	s_waitcnt vmcnt(3)
	v_cmp_neq_f16_e32 vcc, 0, v11
	v_cndmask_b32_e32 v2, v2, v9, vcc
	v_cndmask_b32_e32 v3, v3, v10, vcc
	v_add_co_u32_e32 v9, vcc, 1, v2
	v_addc_co_u32_e32 v10, vcc, 0, v3, vcc
	s_waitcnt vmcnt(2)
	v_cmp_neq_f16_e32 vcc, 0, v12
	v_cndmask_b32_e32 v2, v2, v9, vcc
	v_cndmask_b32_e32 v3, v3, v10, vcc
	;; [unrolled: 6-line block ×4, first 2 shown]
	v_pk_mov_b32 v[14:15], v[6:7], v[6:7] op_sel:[0,1]
	v_pk_mov_b32 v[12:13], v[4:5], v[4:5] op_sel:[0,1]
	;; [unrolled: 1-line block ×4, first 2 shown]
.LBB14_17:                              ;   in Loop: Header=BB14_4 Depth=1
	v_pk_mov_b32 v[0:1], v[8:9], v[8:9] op_sel:[0,1]
	v_pk_mov_b32 v[2:3], v[10:11], v[10:11] op_sel:[0,1]
	;; [unrolled: 1-line block ×4, first 2 shown]
	s_or_b64 exec, exec, s[20:21]
	s_and_saveexec_b64 s[20:21], s[4:5]
	s_cbranch_execz .LBB14_7
.LBB14_18:                              ;   in Loop: Header=BB14_4 Depth=1
	s_and_b64 vcc, exec, s[8:9]
	s_cbranch_vccnz .LBB14_20
; %bb.19:                               ;   in Loop: Header=BB14_4 Depth=1
	v_mov_b32_e32 v9, s17
	v_add_co_u32_e32 v8, vcc, s16, v28
	v_addc_co_u32_e32 v9, vcc, v9, v25, vcc
	global_load_dwordx2 v[12:13], v[8:9], off
	v_add_co_u32_e32 v38, vcc, 1, v4
	v_addc_co_u32_e32 v39, vcc, 0, v5, vcc
	v_mov_b32_e32 v8, v0
	v_mov_b32_e32 v9, v1
	;; [unrolled: 1-line block ×6, first 2 shown]
	s_waitcnt vmcnt(0)
	v_cmp_neq_f16_e32 vcc, 0, v12
	v_cndmask_b32_e32 v38, v4, v38, vcc
	v_cndmask_b32_e32 v39, v5, v39, vcc
	v_add_co_u32_e32 v40, vcc, 1, v38
	v_addc_co_u32_e32 v41, vcc, 0, v39, vcc
	v_cmp_neq_f16_sdwa vcc, v12, v37 src0_sel:WORD_1 src1_sel:DWORD
	v_cndmask_b32_e32 v38, v38, v40, vcc
	v_cndmask_b32_e32 v12, v39, v41, vcc
	v_add_co_u32_e32 v39, vcc, 1, v38
	v_addc_co_u32_e32 v40, vcc, 0, v12, vcc
	v_cmp_neq_f16_e32 vcc, 0, v13
	v_cndmask_b32_e32 v38, v38, v39, vcc
	v_cndmask_b32_e32 v12, v12, v40, vcc
	v_add_co_u32_e32 v39, vcc, 1, v38
	v_addc_co_u32_e32 v40, vcc, 0, v12, vcc
	v_cmp_neq_f16_sdwa vcc, v13, v37 src0_sel:WORD_1 src1_sel:DWORD
	v_cndmask_b32_e32 v13, v12, v40, vcc
	v_cndmask_b32_e32 v12, v38, v39, vcc
	s_cbranch_execz .LBB14_21
	s_branch .LBB14_22
.LBB14_20:                              ;   in Loop: Header=BB14_4 Depth=1
                                        ; implicit-def: $vgpr8_vgpr9_vgpr10_vgpr11_vgpr12_vgpr13_vgpr14_vgpr15
.LBB14_21:                              ;   in Loop: Header=BB14_4 Depth=1
	v_mov_b32_e32 v10, s17
	v_add_co_u32_e32 v8, vcc, s16, v34
	v_addc_co_u32_e32 v9, vcc, v10, v31, vcc
	global_load_ushort v11, v[8:9], off offset:256
	v_add_co_u32_e32 v8, vcc, s16, v30
	v_addc_co_u32_e32 v9, vcc, v10, v27, vcc
	global_load_ushort v12, v[8:9], off offset:256
	;; [unrolled: 3-line block ×4, first 2 shown]
	v_add_co_u32_e32 v9, vcc, 1, v4
	v_addc_co_u32_e32 v10, vcc, 0, v5, vcc
	s_waitcnt vmcnt(3)
	v_cmp_neq_f16_e32 vcc, 0, v11
	v_cndmask_b32_e32 v4, v4, v9, vcc
	v_cndmask_b32_e32 v5, v5, v10, vcc
	v_add_co_u32_e32 v9, vcc, 1, v4
	v_addc_co_u32_e32 v10, vcc, 0, v5, vcc
	s_waitcnt vmcnt(2)
	v_cmp_neq_f16_e32 vcc, 0, v12
	v_cndmask_b32_e32 v4, v4, v9, vcc
	v_cndmask_b32_e32 v5, v5, v10, vcc
	;; [unrolled: 6-line block ×4, first 2 shown]
	v_pk_mov_b32 v[14:15], v[6:7], v[6:7] op_sel:[0,1]
	v_pk_mov_b32 v[12:13], v[4:5], v[4:5] op_sel:[0,1]
	;; [unrolled: 1-line block ×4, first 2 shown]
.LBB14_22:                              ;   in Loop: Header=BB14_4 Depth=1
	v_pk_mov_b32 v[0:1], v[8:9], v[8:9] op_sel:[0,1]
	v_pk_mov_b32 v[2:3], v[10:11], v[10:11] op_sel:[0,1]
	;; [unrolled: 1-line block ×4, first 2 shown]
	s_or_b64 exec, exec, s[20:21]
	s_and_saveexec_b64 s[20:21], s[6:7]
	s_cbranch_execz .LBB14_3
.LBB14_23:                              ;   in Loop: Header=BB14_4 Depth=1
	s_and_b64 vcc, exec, s[8:9]
	s_cbranch_vccnz .LBB14_25
; %bb.24:                               ;   in Loop: Header=BB14_4 Depth=1
	v_mov_b32_e32 v9, s17
	v_add_co_u32_e32 v8, vcc, s16, v32
	v_addc_co_u32_e32 v9, vcc, v9, v29, vcc
	global_load_dwordx2 v[14:15], v[8:9], off
	v_add_co_u32_e32 v38, vcc, 1, v6
	v_addc_co_u32_e32 v39, vcc, 0, v7, vcc
	v_mov_b32_e32 v8, v0
	v_mov_b32_e32 v9, v1
	;; [unrolled: 1-line block ×6, first 2 shown]
	s_waitcnt vmcnt(0)
	v_cmp_neq_f16_e32 vcc, 0, v14
	v_cndmask_b32_e32 v38, v6, v38, vcc
	v_cndmask_b32_e32 v39, v7, v39, vcc
	v_add_co_u32_e32 v40, vcc, 1, v38
	v_addc_co_u32_e32 v41, vcc, 0, v39, vcc
	v_cmp_neq_f16_sdwa vcc, v14, v37 src0_sel:WORD_1 src1_sel:DWORD
	v_cndmask_b32_e32 v38, v38, v40, vcc
	v_cndmask_b32_e32 v14, v39, v41, vcc
	v_add_co_u32_e32 v39, vcc, 1, v38
	v_addc_co_u32_e32 v40, vcc, 0, v14, vcc
	v_cmp_neq_f16_e32 vcc, 0, v15
	v_cndmask_b32_e32 v38, v38, v39, vcc
	v_cndmask_b32_e32 v14, v14, v40, vcc
	v_add_co_u32_e32 v39, vcc, 1, v38
	v_addc_co_u32_e32 v40, vcc, 0, v14, vcc
	v_cmp_neq_f16_sdwa vcc, v15, v37 src0_sel:WORD_1 src1_sel:DWORD
	v_cndmask_b32_e32 v15, v14, v40, vcc
	v_cndmask_b32_e32 v14, v38, v39, vcc
	s_cbranch_execnz .LBB14_2
	s_branch .LBB14_26
.LBB14_25:                              ;   in Loop: Header=BB14_4 Depth=1
                                        ; implicit-def: $vgpr8_vgpr9_vgpr10_vgpr11_vgpr12_vgpr13_vgpr14_vgpr15
.LBB14_26:                              ;   in Loop: Header=BB14_4 Depth=1
	v_mov_b32_e32 v10, s17
	v_add_co_u32_e32 v8, vcc, s16, v34
	v_addc_co_u32_e32 v9, vcc, v10, v31, vcc
	global_load_ushort v11, v[8:9], off offset:384
	v_add_co_u32_e32 v8, vcc, s16, v30
	v_addc_co_u32_e32 v9, vcc, v10, v27, vcc
	global_load_ushort v12, v[8:9], off offset:384
	;; [unrolled: 3-line block ×4, first 2 shown]
	v_add_co_u32_e32 v9, vcc, 1, v6
	v_addc_co_u32_e32 v10, vcc, 0, v7, vcc
	s_waitcnt vmcnt(3)
	v_cmp_neq_f16_e32 vcc, 0, v11
	v_cndmask_b32_e32 v6, v6, v9, vcc
	v_cndmask_b32_e32 v7, v7, v10, vcc
	v_add_co_u32_e32 v9, vcc, 1, v6
	v_addc_co_u32_e32 v10, vcc, 0, v7, vcc
	s_waitcnt vmcnt(2)
	v_cmp_neq_f16_e32 vcc, 0, v12
	v_cndmask_b32_e32 v6, v6, v9, vcc
	v_cndmask_b32_e32 v7, v7, v10, vcc
	;; [unrolled: 6-line block ×4, first 2 shown]
	v_pk_mov_b32 v[14:15], v[6:7], v[6:7] op_sel:[0,1]
	v_pk_mov_b32 v[12:13], v[4:5], v[4:5] op_sel:[0,1]
	v_pk_mov_b32 v[10:11], v[2:3], v[2:3] op_sel:[0,1]
	v_pk_mov_b32 v[8:9], v[0:1], v[0:1] op_sel:[0,1]
	s_branch .LBB14_2
.LBB14_27:
	s_or_b64 exec, exec, s[36:37]
.LBB14_28:
	s_or_b64 exec, exec, s[28:29]
	s_sub_i32 s0, s14, s33
	s_cmp_lt_i32 s0, 1
	s_cbranch_scc1 .LBB14_126
; %bb.29:
	v_mov_b32_e32 v17, 0
	v_lshlrev_b64 v[8:9], 1, v[16:17]
	s_cmp_eq_u32 s12, 1
	v_mov_b32_e32 v10, s17
	v_add_co_u32_e32 v12, vcc, s16, v8
	s_cselect_b64 s[2:3], -1, 0
	s_cmp_lg_u32 s12, 1
	v_addc_co_u32_e32 v13, vcc, v10, v9, vcc
	s_cselect_b64 s[0:1], -1, 0
	v_cmp_gt_i32_e32 vcc, s13, v18
	v_ashrrev_i32_e32 v19, 31, v18
	s_and_saveexec_b64 s[4:5], vcc
	s_cbranch_execz .LBB14_53
; %bb.30:
	v_mul_lo_u32 v10, v18, s19
	v_mul_lo_u32 v11, v19, s18
	v_mad_u64_u32 v[8:9], s[6:7], v18, s18, 0
	v_add3_u32 v9, v9, v10, v11
	v_lshlrev_b64 v[8:9], 1, v[8:9]
	v_add_co_u32_e32 v8, vcc, v12, v8
	v_addc_co_u32_e32 v9, vcc, v13, v9, vcc
	v_lshlrev_b64 v[10:11], 1, v[18:19]
	v_mov_b32_e32 v15, s17
	v_add_co_u32_e32 v14, vcc, s16, v10
	v_addc_co_u32_e32 v15, vcc, v15, v11, vcc
	v_cmp_gt_i32_e32 vcc, s14, v16
	s_and_saveexec_b64 s[6:7], vcc
	s_cbranch_execz .LBB14_34
; %bb.31:
	s_andn2_b64 vcc, exec, s[2:3]
	v_pk_mov_b32 v[10:11], v[8:9], v[8:9] op_sel:[0,1]
	s_cbranch_vccnz .LBB14_33
; %bb.32:
	v_mad_u64_u32 v[10:11], s[8:9], v16, s18, 0
	v_mov_b32_e32 v20, v11
	v_mad_u64_u32 v[20:21], s[8:9], v16, s19, v[20:21]
	v_mov_b32_e32 v11, v20
	v_lshlrev_b64 v[10:11], 1, v[10:11]
	v_add_co_u32_e32 v10, vcc, v14, v10
	v_addc_co_u32_e32 v11, vcc, v15, v11, vcc
.LBB14_33:
	global_load_ushort v10, v[10:11], off
	s_waitcnt vmcnt(0)
	v_cmp_neq_f16_e32 vcc, 0, v10
	v_cndmask_b32_e64 v10, 0, 1, vcc
	v_add_co_u32_e32 v0, vcc, v0, v10
	v_addc_co_u32_e32 v1, vcc, 0, v1, vcc
.LBB14_34:
	s_or_b64 exec, exec, s[6:7]
	v_or_b32_e32 v17, 1, v16
	v_cmp_gt_i32_e32 vcc, s14, v17
	s_and_saveexec_b64 s[6:7], vcc
	s_cbranch_execz .LBB14_40
; %bb.35:
	s_andn2_b64 vcc, exec, s[0:1]
	s_cbranch_vccnz .LBB14_37
; %bb.36:
	v_add_co_u32_e32 v10, vcc, 2, v8
	v_addc_co_u32_e32 v11, vcc, 0, v9, vcc
	s_cbranch_execz .LBB14_38
	s_branch .LBB14_39
.LBB14_37:
                                        ; implicit-def: $vgpr10_vgpr11
.LBB14_38:
	v_mad_u64_u32 v[10:11], s[8:9], v17, s18, 0
	v_mov_b32_e32 v20, v11
	v_mad_u64_u32 v[20:21], s[8:9], v17, s19, v[20:21]
	v_mov_b32_e32 v11, v20
	v_lshlrev_b64 v[10:11], 1, v[10:11]
	v_add_co_u32_e32 v10, vcc, v14, v10
	v_addc_co_u32_e32 v11, vcc, v15, v11, vcc
.LBB14_39:
	global_load_ushort v10, v[10:11], off
	s_waitcnt vmcnt(0)
	v_cmp_neq_f16_e32 vcc, 0, v10
	v_cndmask_b32_e64 v10, 0, 1, vcc
	v_add_co_u32_e32 v0, vcc, v0, v10
	v_addc_co_u32_e32 v1, vcc, 0, v1, vcc
.LBB14_40:
	s_or_b64 exec, exec, s[6:7]
	v_or_b32_e32 v17, 2, v16
	v_cmp_gt_i32_e32 vcc, s14, v17
	s_and_saveexec_b64 s[6:7], vcc
	s_cbranch_execz .LBB14_46
; %bb.41:
	s_andn2_b64 vcc, exec, s[0:1]
	s_cbranch_vccnz .LBB14_43
; %bb.42:
	v_add_co_u32_e32 v10, vcc, 4, v8
	v_addc_co_u32_e32 v11, vcc, 0, v9, vcc
	s_cbranch_execz .LBB14_44
	s_branch .LBB14_45
.LBB14_43:
                                        ; implicit-def: $vgpr10_vgpr11
.LBB14_44:
	v_mad_u64_u32 v[10:11], s[8:9], v17, s18, 0
	v_mov_b32_e32 v20, v11
	v_mad_u64_u32 v[20:21], s[8:9], v17, s19, v[20:21]
	v_mov_b32_e32 v11, v20
	v_lshlrev_b64 v[10:11], 1, v[10:11]
	v_add_co_u32_e32 v10, vcc, v14, v10
	v_addc_co_u32_e32 v11, vcc, v15, v11, vcc
.LBB14_45:
	global_load_ushort v10, v[10:11], off
	s_waitcnt vmcnt(0)
	v_cmp_neq_f16_e32 vcc, 0, v10
	v_cndmask_b32_e64 v10, 0, 1, vcc
	v_add_co_u32_e32 v0, vcc, v0, v10
	v_addc_co_u32_e32 v1, vcc, 0, v1, vcc
.LBB14_46:
	s_or_b64 exec, exec, s[6:7]
	v_or_b32_e32 v10, 3, v16
	v_cmp_gt_i32_e32 vcc, s14, v10
	s_and_saveexec_b64 s[6:7], vcc
	s_cbranch_execz .LBB14_52
; %bb.47:
	s_andn2_b64 vcc, exec, s[0:1]
	s_cbranch_vccnz .LBB14_49
; %bb.48:
	v_add_co_u32_e32 v8, vcc, 6, v8
	v_addc_co_u32_e32 v9, vcc, 0, v9, vcc
	s_cbranch_execz .LBB14_50
	s_branch .LBB14_51
.LBB14_49:
                                        ; implicit-def: $vgpr8_vgpr9
.LBB14_50:
	v_mad_u64_u32 v[8:9], s[8:9], v10, s18, 0
	v_mov_b32_e32 v20, v9
	v_mad_u64_u32 v[10:11], s[8:9], v10, s19, v[20:21]
	v_mov_b32_e32 v9, v10
	v_lshlrev_b64 v[8:9], 1, v[8:9]
	v_add_co_u32_e32 v8, vcc, v14, v8
	v_addc_co_u32_e32 v9, vcc, v15, v9, vcc
.LBB14_51:
	global_load_ushort v8, v[8:9], off
	s_waitcnt vmcnt(0)
	v_cmp_neq_f16_e32 vcc, 0, v8
	v_cndmask_b32_e64 v8, 0, 1, vcc
	v_add_co_u32_e32 v0, vcc, v0, v8
	v_addc_co_u32_e32 v1, vcc, 0, v1, vcc
.LBB14_52:
	s_or_b64 exec, exec, s[6:7]
.LBB14_53:
	s_or_b64 exec, exec, s[4:5]
	v_cmp_gt_i32_e32 vcc, s13, v36
	s_and_saveexec_b64 s[4:5], vcc
	s_cbranch_execz .LBB14_77
; %bb.54:
	v_ashrrev_i32_e32 v8, 31, v36
	v_mul_lo_u32 v10, v36, s19
	v_mul_lo_u32 v11, v8, s18
	v_mad_u64_u32 v[8:9], s[6:7], v36, s18, 0
	v_add3_u32 v9, v9, v10, v11
	v_lshlrev_b64 v[8:9], 1, v[8:9]
	v_add_co_u32_e32 v8, vcc, v12, v8
	v_addc_co_u32_e32 v9, vcc, v13, v9, vcc
	v_lshlrev_b64 v[10:11], 1, v[18:19]
	v_mov_b32_e32 v15, s17
	v_add_co_u32_e32 v14, vcc, s16, v10
	v_addc_co_u32_e32 v15, vcc, v15, v11, vcc
	v_cmp_gt_i32_e32 vcc, s14, v16
	s_and_saveexec_b64 s[6:7], vcc
	s_cbranch_execz .LBB14_58
; %bb.55:
	s_andn2_b64 vcc, exec, s[2:3]
	v_pk_mov_b32 v[10:11], v[8:9], v[8:9] op_sel:[0,1]
	s_cbranch_vccnz .LBB14_57
; %bb.56:
	v_mad_u64_u32 v[10:11], s[8:9], v16, s18, 0
	v_mov_b32_e32 v20, v11
	v_mad_u64_u32 v[20:21], s[8:9], v16, s19, v[20:21]
	v_mov_b32_e32 v11, v20
	v_lshlrev_b64 v[10:11], 1, v[10:11]
	v_add_co_u32_e32 v10, vcc, v14, v10
	v_addc_co_u32_e32 v11, vcc, v15, v11, vcc
	v_add_co_u32_e32 v10, vcc, 0x80, v10
	v_addc_co_u32_e32 v11, vcc, 0, v11, vcc
.LBB14_57:
	global_load_ushort v10, v[10:11], off
	s_waitcnt vmcnt(0)
	v_cmp_neq_f16_e32 vcc, 0, v10
	v_cndmask_b32_e64 v10, 0, 1, vcc
	v_add_co_u32_e32 v2, vcc, v2, v10
	v_addc_co_u32_e32 v3, vcc, 0, v3, vcc
.LBB14_58:
	s_or_b64 exec, exec, s[6:7]
	v_or_b32_e32 v17, 1, v16
	v_cmp_gt_i32_e32 vcc, s14, v17
	s_and_saveexec_b64 s[6:7], vcc
	s_cbranch_execz .LBB14_64
; %bb.59:
	s_andn2_b64 vcc, exec, s[0:1]
	s_cbranch_vccnz .LBB14_61
; %bb.60:
	v_add_co_u32_e32 v10, vcc, 2, v8
	v_addc_co_u32_e32 v11, vcc, 0, v9, vcc
	s_cbranch_execz .LBB14_62
	s_branch .LBB14_63
.LBB14_61:
                                        ; implicit-def: $vgpr10_vgpr11
.LBB14_62:
	v_mad_u64_u32 v[10:11], s[8:9], v17, s18, 0
	v_mov_b32_e32 v20, v11
	v_mad_u64_u32 v[20:21], s[8:9], v17, s19, v[20:21]
	v_mov_b32_e32 v11, v20
	v_lshlrev_b64 v[10:11], 1, v[10:11]
	v_add_co_u32_e32 v10, vcc, v14, v10
	v_addc_co_u32_e32 v11, vcc, v15, v11, vcc
	v_add_co_u32_e32 v10, vcc, 0x80, v10
	v_addc_co_u32_e32 v11, vcc, 0, v11, vcc
.LBB14_63:
	global_load_ushort v10, v[10:11], off
	s_waitcnt vmcnt(0)
	v_cmp_neq_f16_e32 vcc, 0, v10
	v_cndmask_b32_e64 v10, 0, 1, vcc
	v_add_co_u32_e32 v2, vcc, v2, v10
	v_addc_co_u32_e32 v3, vcc, 0, v3, vcc
.LBB14_64:
	s_or_b64 exec, exec, s[6:7]
	v_or_b32_e32 v17, 2, v16
	v_cmp_gt_i32_e32 vcc, s14, v17
	s_and_saveexec_b64 s[6:7], vcc
	s_cbranch_execz .LBB14_70
; %bb.65:
	s_andn2_b64 vcc, exec, s[0:1]
	s_cbranch_vccnz .LBB14_67
; %bb.66:
	v_add_co_u32_e32 v10, vcc, 4, v8
	v_addc_co_u32_e32 v11, vcc, 0, v9, vcc
	s_cbranch_execz .LBB14_68
	s_branch .LBB14_69
.LBB14_67:
                                        ; implicit-def: $vgpr10_vgpr11
.LBB14_68:
	v_mad_u64_u32 v[10:11], s[8:9], v17, s18, 0
	v_mov_b32_e32 v20, v11
	v_mad_u64_u32 v[20:21], s[8:9], v17, s19, v[20:21]
	v_mov_b32_e32 v11, v20
	v_lshlrev_b64 v[10:11], 1, v[10:11]
	v_add_co_u32_e32 v10, vcc, v14, v10
	v_addc_co_u32_e32 v11, vcc, v15, v11, vcc
	v_add_co_u32_e32 v10, vcc, 0x80, v10
	v_addc_co_u32_e32 v11, vcc, 0, v11, vcc
.LBB14_69:
	global_load_ushort v10, v[10:11], off
	s_waitcnt vmcnt(0)
	v_cmp_neq_f16_e32 vcc, 0, v10
	v_cndmask_b32_e64 v10, 0, 1, vcc
	v_add_co_u32_e32 v2, vcc, v2, v10
	v_addc_co_u32_e32 v3, vcc, 0, v3, vcc
.LBB14_70:
	s_or_b64 exec, exec, s[6:7]
	v_or_b32_e32 v10, 3, v16
	v_cmp_gt_i32_e32 vcc, s14, v10
	s_and_saveexec_b64 s[6:7], vcc
	s_cbranch_execz .LBB14_76
; %bb.71:
	s_andn2_b64 vcc, exec, s[0:1]
	s_cbranch_vccnz .LBB14_73
; %bb.72:
	v_add_co_u32_e32 v8, vcc, 6, v8
	v_addc_co_u32_e32 v9, vcc, 0, v9, vcc
	s_cbranch_execz .LBB14_74
	s_branch .LBB14_75
.LBB14_73:
                                        ; implicit-def: $vgpr8_vgpr9
.LBB14_74:
	v_mad_u64_u32 v[8:9], s[8:9], v10, s18, 0
	v_mov_b32_e32 v20, v9
	v_mad_u64_u32 v[10:11], s[8:9], v10, s19, v[20:21]
	v_mov_b32_e32 v9, v10
	v_lshlrev_b64 v[8:9], 1, v[8:9]
	v_add_co_u32_e32 v8, vcc, v14, v8
	v_addc_co_u32_e32 v9, vcc, v15, v9, vcc
	v_add_co_u32_e32 v8, vcc, 0x80, v8
	v_addc_co_u32_e32 v9, vcc, 0, v9, vcc
.LBB14_75:
	global_load_ushort v8, v[8:9], off
	s_waitcnt vmcnt(0)
	v_cmp_neq_f16_e32 vcc, 0, v8
	v_cndmask_b32_e64 v8, 0, 1, vcc
	v_add_co_u32_e32 v2, vcc, v2, v8
	v_addc_co_u32_e32 v3, vcc, 0, v3, vcc
.LBB14_76:
	s_or_b64 exec, exec, s[6:7]
.LBB14_77:
	s_or_b64 exec, exec, s[4:5]
	v_or_b32_e32 v8, 0x80, v18
	v_cmp_gt_i32_e32 vcc, s13, v8
	s_and_saveexec_b64 s[4:5], vcc
	s_cbranch_execz .LBB14_101
; %bb.78:
	v_ashrrev_i32_e32 v9, 31, v8
	v_mul_lo_u32 v10, v8, s19
	v_mul_lo_u32 v11, v9, s18
	v_mad_u64_u32 v[8:9], s[6:7], v8, s18, 0
	v_add3_u32 v9, v9, v10, v11
	v_lshlrev_b64 v[8:9], 1, v[8:9]
	v_add_co_u32_e32 v8, vcc, v12, v8
	v_addc_co_u32_e32 v9, vcc, v13, v9, vcc
	v_lshlrev_b64 v[10:11], 1, v[18:19]
	v_mov_b32_e32 v15, s17
	v_add_co_u32_e32 v14, vcc, s16, v10
	v_addc_co_u32_e32 v15, vcc, v15, v11, vcc
	v_cmp_gt_i32_e32 vcc, s14, v16
	s_and_saveexec_b64 s[6:7], vcc
	s_cbranch_execz .LBB14_82
; %bb.79:
	s_andn2_b64 vcc, exec, s[2:3]
	v_pk_mov_b32 v[10:11], v[8:9], v[8:9] op_sel:[0,1]
	s_cbranch_vccnz .LBB14_81
; %bb.80:
	v_mad_u64_u32 v[10:11], s[8:9], v16, s18, 0
	v_mov_b32_e32 v20, v11
	v_mad_u64_u32 v[20:21], s[8:9], v16, s19, v[20:21]
	v_mov_b32_e32 v11, v20
	v_lshlrev_b64 v[10:11], 1, v[10:11]
	v_add_co_u32_e32 v10, vcc, v14, v10
	v_addc_co_u32_e32 v11, vcc, v15, v11, vcc
	v_add_co_u32_e32 v10, vcc, 0x100, v10
	v_addc_co_u32_e32 v11, vcc, 0, v11, vcc
.LBB14_81:
	global_load_ushort v10, v[10:11], off
	s_waitcnt vmcnt(0)
	v_cmp_neq_f16_e32 vcc, 0, v10
	v_cndmask_b32_e64 v10, 0, 1, vcc
	v_add_co_u32_e32 v4, vcc, v4, v10
	v_addc_co_u32_e32 v5, vcc, 0, v5, vcc
.LBB14_82:
	s_or_b64 exec, exec, s[6:7]
	v_or_b32_e32 v17, 1, v16
	v_cmp_gt_i32_e32 vcc, s14, v17
	s_and_saveexec_b64 s[6:7], vcc
	s_cbranch_execz .LBB14_88
; %bb.83:
	s_andn2_b64 vcc, exec, s[0:1]
	s_cbranch_vccnz .LBB14_85
; %bb.84:
	v_add_co_u32_e32 v10, vcc, 2, v8
	v_addc_co_u32_e32 v11, vcc, 0, v9, vcc
	s_cbranch_execz .LBB14_86
	s_branch .LBB14_87
.LBB14_85:
                                        ; implicit-def: $vgpr10_vgpr11
.LBB14_86:
	v_mad_u64_u32 v[10:11], s[8:9], v17, s18, 0
	v_mov_b32_e32 v20, v11
	v_mad_u64_u32 v[20:21], s[8:9], v17, s19, v[20:21]
	v_mov_b32_e32 v11, v20
	v_lshlrev_b64 v[10:11], 1, v[10:11]
	v_add_co_u32_e32 v10, vcc, v14, v10
	v_addc_co_u32_e32 v11, vcc, v15, v11, vcc
	v_add_co_u32_e32 v10, vcc, 0x100, v10
	v_addc_co_u32_e32 v11, vcc, 0, v11, vcc
.LBB14_87:
	global_load_ushort v10, v[10:11], off
	s_waitcnt vmcnt(0)
	v_cmp_neq_f16_e32 vcc, 0, v10
	v_cndmask_b32_e64 v10, 0, 1, vcc
	v_add_co_u32_e32 v4, vcc, v4, v10
	v_addc_co_u32_e32 v5, vcc, 0, v5, vcc
.LBB14_88:
	s_or_b64 exec, exec, s[6:7]
	v_or_b32_e32 v17, 2, v16
	v_cmp_gt_i32_e32 vcc, s14, v17
	s_and_saveexec_b64 s[6:7], vcc
	s_cbranch_execz .LBB14_94
; %bb.89:
	s_andn2_b64 vcc, exec, s[0:1]
	s_cbranch_vccnz .LBB14_91
; %bb.90:
	v_add_co_u32_e32 v10, vcc, 4, v8
	v_addc_co_u32_e32 v11, vcc, 0, v9, vcc
	s_cbranch_execz .LBB14_92
	s_branch .LBB14_93
.LBB14_91:
                                        ; implicit-def: $vgpr10_vgpr11
.LBB14_92:
	v_mad_u64_u32 v[10:11], s[8:9], v17, s18, 0
	v_mov_b32_e32 v20, v11
	v_mad_u64_u32 v[20:21], s[8:9], v17, s19, v[20:21]
	v_mov_b32_e32 v11, v20
	v_lshlrev_b64 v[10:11], 1, v[10:11]
	v_add_co_u32_e32 v10, vcc, v14, v10
	v_addc_co_u32_e32 v11, vcc, v15, v11, vcc
	v_add_co_u32_e32 v10, vcc, 0x100, v10
	v_addc_co_u32_e32 v11, vcc, 0, v11, vcc
.LBB14_93:
	global_load_ushort v10, v[10:11], off
	s_waitcnt vmcnt(0)
	v_cmp_neq_f16_e32 vcc, 0, v10
	v_cndmask_b32_e64 v10, 0, 1, vcc
	v_add_co_u32_e32 v4, vcc, v4, v10
	v_addc_co_u32_e32 v5, vcc, 0, v5, vcc
.LBB14_94:
	s_or_b64 exec, exec, s[6:7]
	v_or_b32_e32 v10, 3, v16
	v_cmp_gt_i32_e32 vcc, s14, v10
	s_and_saveexec_b64 s[6:7], vcc
	s_cbranch_execz .LBB14_100
; %bb.95:
	s_andn2_b64 vcc, exec, s[0:1]
	s_cbranch_vccnz .LBB14_97
; %bb.96:
	v_add_co_u32_e32 v8, vcc, 6, v8
	v_addc_co_u32_e32 v9, vcc, 0, v9, vcc
	s_cbranch_execz .LBB14_98
	s_branch .LBB14_99
.LBB14_97:
                                        ; implicit-def: $vgpr8_vgpr9
.LBB14_98:
	v_mad_u64_u32 v[8:9], s[8:9], v10, s18, 0
	v_mov_b32_e32 v20, v9
	v_mad_u64_u32 v[10:11], s[8:9], v10, s19, v[20:21]
	v_mov_b32_e32 v9, v10
	v_lshlrev_b64 v[8:9], 1, v[8:9]
	v_add_co_u32_e32 v8, vcc, v14, v8
	v_addc_co_u32_e32 v9, vcc, v15, v9, vcc
	v_add_co_u32_e32 v8, vcc, 0x100, v8
	v_addc_co_u32_e32 v9, vcc, 0, v9, vcc
.LBB14_99:
	global_load_ushort v8, v[8:9], off
	s_waitcnt vmcnt(0)
	v_cmp_neq_f16_e32 vcc, 0, v8
	v_cndmask_b32_e64 v8, 0, 1, vcc
	v_add_co_u32_e32 v4, vcc, v4, v8
	v_addc_co_u32_e32 v5, vcc, 0, v5, vcc
.LBB14_100:
	s_or_b64 exec, exec, s[6:7]
.LBB14_101:
	s_or_b64 exec, exec, s[4:5]
	v_or_b32_e32 v8, 0xc0, v18
	v_cmp_gt_i32_e32 vcc, s13, v8
	s_and_saveexec_b64 s[4:5], vcc
	s_cbranch_execz .LBB14_125
; %bb.102:
	v_ashrrev_i32_e32 v9, 31, v8
	v_mul_lo_u32 v10, v8, s19
	v_mul_lo_u32 v11, v9, s18
	v_mad_u64_u32 v[8:9], s[6:7], v8, s18, 0
	v_add3_u32 v9, v9, v10, v11
	v_lshlrev_b64 v[8:9], 1, v[8:9]
	v_add_co_u32_e32 v8, vcc, v12, v8
	v_addc_co_u32_e32 v9, vcc, v13, v9, vcc
	v_lshlrev_b64 v[10:11], 1, v[18:19]
	v_mov_b32_e32 v13, s17
	v_add_co_u32_e32 v12, vcc, s16, v10
	v_addc_co_u32_e32 v13, vcc, v13, v11, vcc
	v_cmp_gt_i32_e32 vcc, s14, v16
	s_and_saveexec_b64 s[6:7], vcc
	s_cbranch_execz .LBB14_106
; %bb.103:
	s_andn2_b64 vcc, exec, s[2:3]
	v_pk_mov_b32 v[10:11], v[8:9], v[8:9] op_sel:[0,1]
	s_cbranch_vccnz .LBB14_105
; %bb.104:
	v_mad_u64_u32 v[10:11], s[2:3], v16, s18, 0
	v_mov_b32_e32 v14, v11
	v_mad_u64_u32 v[14:15], s[2:3], v16, s19, v[14:15]
	v_mov_b32_e32 v11, v14
	v_lshlrev_b64 v[10:11], 1, v[10:11]
	v_add_co_u32_e32 v10, vcc, v12, v10
	v_addc_co_u32_e32 v11, vcc, v13, v11, vcc
	v_add_co_u32_e32 v10, vcc, 0x180, v10
	v_addc_co_u32_e32 v11, vcc, 0, v11, vcc
.LBB14_105:
	global_load_ushort v10, v[10:11], off
	s_waitcnt vmcnt(0)
	v_cmp_neq_f16_e32 vcc, 0, v10
	v_cndmask_b32_e64 v10, 0, 1, vcc
	v_add_co_u32_e32 v6, vcc, v6, v10
	v_addc_co_u32_e32 v7, vcc, 0, v7, vcc
.LBB14_106:
	s_or_b64 exec, exec, s[6:7]
	v_or_b32_e32 v14, 1, v16
	v_cndmask_b32_e64 v10, 0, 1, s[0:1]
	v_cmp_gt_i32_e32 vcc, s14, v14
	v_cmp_ne_u32_e64 s[0:1], 1, v10
	s_and_saveexec_b64 s[2:3], vcc
	s_cbranch_execz .LBB14_112
; %bb.107:
	s_and_b64 vcc, exec, s[0:1]
	s_cbranch_vccnz .LBB14_109
; %bb.108:
	v_add_co_u32_e32 v10, vcc, 2, v8
	v_addc_co_u32_e32 v11, vcc, 0, v9, vcc
	s_cbranch_execz .LBB14_110
	s_branch .LBB14_111
.LBB14_109:
                                        ; implicit-def: $vgpr10_vgpr11
.LBB14_110:
	v_mad_u64_u32 v[10:11], s[6:7], v14, s18, 0
	v_mov_b32_e32 v18, v11
	v_mad_u64_u32 v[14:15], s[6:7], v14, s19, v[18:19]
	v_mov_b32_e32 v11, v14
	v_lshlrev_b64 v[10:11], 1, v[10:11]
	v_add_co_u32_e32 v10, vcc, v12, v10
	v_addc_co_u32_e32 v11, vcc, v13, v11, vcc
	v_add_co_u32_e32 v10, vcc, 0x180, v10
	v_addc_co_u32_e32 v11, vcc, 0, v11, vcc
.LBB14_111:
	global_load_ushort v10, v[10:11], off
	s_waitcnt vmcnt(0)
	v_cmp_neq_f16_e32 vcc, 0, v10
	v_cndmask_b32_e64 v10, 0, 1, vcc
	v_add_co_u32_e32 v6, vcc, v6, v10
	v_addc_co_u32_e32 v7, vcc, 0, v7, vcc
.LBB14_112:
	s_or_b64 exec, exec, s[2:3]
	v_or_b32_e32 v14, 2, v16
	v_cmp_gt_i32_e32 vcc, s14, v14
	s_and_saveexec_b64 s[2:3], vcc
	s_cbranch_execz .LBB14_118
; %bb.113:
	s_and_b64 vcc, exec, s[0:1]
	s_cbranch_vccnz .LBB14_115
; %bb.114:
	v_add_co_u32_e32 v10, vcc, 4, v8
	v_addc_co_u32_e32 v11, vcc, 0, v9, vcc
	s_cbranch_execz .LBB14_116
	s_branch .LBB14_117
.LBB14_115:
                                        ; implicit-def: $vgpr10_vgpr11
.LBB14_116:
	v_mad_u64_u32 v[10:11], s[6:7], v14, s18, 0
	v_mov_b32_e32 v18, v11
	v_mad_u64_u32 v[14:15], s[6:7], v14, s19, v[18:19]
	v_mov_b32_e32 v11, v14
	v_lshlrev_b64 v[10:11], 1, v[10:11]
	v_add_co_u32_e32 v10, vcc, v12, v10
	v_addc_co_u32_e32 v11, vcc, v13, v11, vcc
	v_add_co_u32_e32 v10, vcc, 0x180, v10
	v_addc_co_u32_e32 v11, vcc, 0, v11, vcc
.LBB14_117:
	global_load_ushort v10, v[10:11], off
	s_waitcnt vmcnt(0)
	v_cmp_neq_f16_e32 vcc, 0, v10
	v_cndmask_b32_e64 v10, 0, 1, vcc
	v_add_co_u32_e32 v6, vcc, v6, v10
	v_addc_co_u32_e32 v7, vcc, 0, v7, vcc
.LBB14_118:
	s_or_b64 exec, exec, s[2:3]
	v_or_b32_e32 v10, 3, v16
	v_cmp_gt_i32_e32 vcc, s14, v10
	s_and_saveexec_b64 s[2:3], vcc
	s_cbranch_execz .LBB14_124
; %bb.119:
	s_and_b64 vcc, exec, s[0:1]
	s_cbranch_vccnz .LBB14_121
; %bb.120:
	v_add_co_u32_e32 v8, vcc, 6, v8
	v_addc_co_u32_e32 v9, vcc, 0, v9, vcc
	s_cbranch_execz .LBB14_122
	s_branch .LBB14_123
.LBB14_121:
                                        ; implicit-def: $vgpr8_vgpr9
.LBB14_122:
	v_mad_u64_u32 v[8:9], s[0:1], v10, s18, 0
	v_mov_b32_e32 v14, v9
	v_mad_u64_u32 v[10:11], s[0:1], v10, s19, v[14:15]
	v_mov_b32_e32 v9, v10
	v_lshlrev_b64 v[8:9], 1, v[8:9]
	v_add_co_u32_e32 v8, vcc, v12, v8
	v_addc_co_u32_e32 v9, vcc, v13, v9, vcc
	v_add_co_u32_e32 v8, vcc, 0x180, v8
	v_addc_co_u32_e32 v9, vcc, 0, v9, vcc
.LBB14_123:
	global_load_ushort v8, v[8:9], off
	s_waitcnt vmcnt(0)
	v_cmp_neq_f16_e32 vcc, 0, v8
	v_cndmask_b32_e64 v8, 0, 1, vcc
	v_add_co_u32_e32 v6, vcc, v6, v8
	v_addc_co_u32_e32 v7, vcc, 0, v7, vcc
.LBB14_124:
	s_or_b64 exec, exec, s[2:3]
.LBB14_125:
	s_or_b64 exec, exec, s[4:5]
.LBB14_126:
	v_lshlrev_b32_e32 v8, 2, v33
	s_mov_b32 s0, 0x1fffff00
	v_and_or_b32 v8, v8, s0, v35
	s_movk_i32 s0, 0x100
	v_lshlrev_b32_e32 v8, 3, v8
	v_cmp_gt_u32_e32 vcc, s0, v33
	ds_write2st64_b64 v8, v[0:1], v[2:3] offset1:1
	ds_write2st64_b64 v8, v[4:5], v[6:7] offset0:2 offset1:3
	s_waitcnt lgkmcnt(0)
	s_barrier
	s_and_saveexec_b64 s[0:1], vcc
	s_cbranch_execz .LBB14_129
; %bb.127:
	v_lshlrev_b32_e32 v1, 3, v33
	ds_read2st64_b64 v[2:5], v1 offset1:4
	ds_read2st64_b64 v[6:9], v1 offset0:8 offset1:12
	v_add_u32_e32 v0, s15, v33
	s_waitcnt lgkmcnt(1)
	v_add_co_u32_e32 v2, vcc, v2, v4
	v_addc_co_u32_e32 v3, vcc, v3, v5, vcc
	s_waitcnt lgkmcnt(0)
	v_add_co_u32_e32 v6, vcc, v2, v6
	v_addc_co_u32_e32 v7, vcc, v3, v7, vcc
	ds_read2st64_b64 v[2:5], v1 offset0:16 offset1:20
	v_add_co_u32_e32 v6, vcc, v6, v8
	v_addc_co_u32_e32 v7, vcc, v7, v9, vcc
	s_waitcnt lgkmcnt(0)
	v_add_co_u32_e32 v2, vcc, v6, v2
	v_addc_co_u32_e32 v3, vcc, v7, v3, vcc
	ds_read2st64_b64 v[6:9], v1 offset0:24 offset1:28
	;; [unrolled: 6-line block ×6, first 2 shown]
	v_add_co_u32_e32 v2, vcc, v2, v4
	v_addc_co_u32_e32 v3, vcc, v3, v5, vcc
	s_waitcnt lgkmcnt(0)
	v_add_co_u32_e32 v2, vcc, v2, v6
	v_addc_co_u32_e32 v3, vcc, v3, v7, vcc
	v_add_co_u32_e32 v2, vcc, v2, v8
	v_addc_co_u32_e32 v3, vcc, v3, v9, vcc
	v_cmp_gt_i32_e32 vcc, s13, v0
	ds_write_b64 v1, v[2:3]
	s_and_b64 exec, exec, vcc
	s_cbranch_execz .LBB14_129
; %bb.128:
	v_ashrrev_i32_e32 v1, 31, v0
	v_lshlrev_b64 v[0:1], 3, v[0:1]
	v_mov_b32_e32 v4, s11
	v_add_co_u32_e32 v0, vcc, s10, v0
	v_addc_co_u32_e32 v1, vcc, v4, v1, vcc
	global_store_dwordx2 v[0:1], v[2:3], off
.LBB14_129:
	s_endpgm
	.section	.rodata,"a",@progbits
	.p2align	6, 0x0
	.amdhsa_kernel _ZN9rocsparseL14nnz_kernel_rowILi64ELi16EliDF16_EEv16rocsparse_order_T2_S2_PKT3_lPT1_
		.amdhsa_group_segment_fixed_size 32768
		.amdhsa_private_segment_fixed_size 0
		.amdhsa_kernarg_size 296
		.amdhsa_user_sgpr_count 6
		.amdhsa_user_sgpr_private_segment_buffer 1
		.amdhsa_user_sgpr_dispatch_ptr 0
		.amdhsa_user_sgpr_queue_ptr 0
		.amdhsa_user_sgpr_kernarg_segment_ptr 1
		.amdhsa_user_sgpr_dispatch_id 0
		.amdhsa_user_sgpr_flat_scratch_init 0
		.amdhsa_user_sgpr_kernarg_preload_length 0
		.amdhsa_user_sgpr_kernarg_preload_offset 0
		.amdhsa_user_sgpr_private_segment_size 0
		.amdhsa_uses_dynamic_stack 0
		.amdhsa_system_sgpr_private_segment_wavefront_offset 0
		.amdhsa_system_sgpr_workgroup_id_x 1
		.amdhsa_system_sgpr_workgroup_id_y 0
		.amdhsa_system_sgpr_workgroup_id_z 0
		.amdhsa_system_sgpr_workgroup_info 0
		.amdhsa_system_vgpr_workitem_id 1
		.amdhsa_next_free_vgpr 42
		.amdhsa_next_free_sgpr 38
		.amdhsa_accum_offset 44
		.amdhsa_reserve_vcc 1
		.amdhsa_reserve_flat_scratch 0
		.amdhsa_float_round_mode_32 0
		.amdhsa_float_round_mode_16_64 0
		.amdhsa_float_denorm_mode_32 3
		.amdhsa_float_denorm_mode_16_64 3
		.amdhsa_dx10_clamp 1
		.amdhsa_ieee_mode 1
		.amdhsa_fp16_overflow 0
		.amdhsa_tg_split 0
		.amdhsa_exception_fp_ieee_invalid_op 0
		.amdhsa_exception_fp_denorm_src 0
		.amdhsa_exception_fp_ieee_div_zero 0
		.amdhsa_exception_fp_ieee_overflow 0
		.amdhsa_exception_fp_ieee_underflow 0
		.amdhsa_exception_fp_ieee_inexact 0
		.amdhsa_exception_int_div_zero 0
	.end_amdhsa_kernel
	.section	.text._ZN9rocsparseL14nnz_kernel_rowILi64ELi16EliDF16_EEv16rocsparse_order_T2_S2_PKT3_lPT1_,"axG",@progbits,_ZN9rocsparseL14nnz_kernel_rowILi64ELi16EliDF16_EEv16rocsparse_order_T2_S2_PKT3_lPT1_,comdat
.Lfunc_end14:
	.size	_ZN9rocsparseL14nnz_kernel_rowILi64ELi16EliDF16_EEv16rocsparse_order_T2_S2_PKT3_lPT1_, .Lfunc_end14-_ZN9rocsparseL14nnz_kernel_rowILi64ELi16EliDF16_EEv16rocsparse_order_T2_S2_PKT3_lPT1_
                                        ; -- End function
	.section	.AMDGPU.csdata,"",@progbits
; Kernel info:
; codeLenInByte = 5184
; NumSgprs: 42
; NumVgprs: 42
; NumAgprs: 0
; TotalNumVgprs: 42
; ScratchSize: 0
; MemoryBound: 0
; FloatMode: 240
; IeeeMode: 1
; LDSByteSize: 32768 bytes/workgroup (compile time only)
; SGPRBlocks: 5
; VGPRBlocks: 5
; NumSGPRsForWavesPerEU: 42
; NumVGPRsForWavesPerEU: 42
; AccumOffset: 44
; Occupancy: 8
; WaveLimiterHint : 0
; COMPUTE_PGM_RSRC2:SCRATCH_EN: 0
; COMPUTE_PGM_RSRC2:USER_SGPR: 6
; COMPUTE_PGM_RSRC2:TRAP_HANDLER: 0
; COMPUTE_PGM_RSRC2:TGID_X_EN: 1
; COMPUTE_PGM_RSRC2:TGID_Y_EN: 0
; COMPUTE_PGM_RSRC2:TGID_Z_EN: 0
; COMPUTE_PGM_RSRC2:TIDIG_COMP_CNT: 1
; COMPUTE_PGM_RSRC3_GFX90A:ACCUM_OFFSET: 10
; COMPUTE_PGM_RSRC3_GFX90A:TG_SPLIT: 0
	.section	.text._ZN9rocsparseL14nnz_kernel_colILi256EliDF16_EEv16rocsparse_order_T1_S2_PKT2_lPT0_,"axG",@progbits,_ZN9rocsparseL14nnz_kernel_colILi256EliDF16_EEv16rocsparse_order_T1_S2_PKT2_lPT0_,comdat
	.globl	_ZN9rocsparseL14nnz_kernel_colILi256EliDF16_EEv16rocsparse_order_T1_S2_PKT2_lPT0_ ; -- Begin function _ZN9rocsparseL14nnz_kernel_colILi256EliDF16_EEv16rocsparse_order_T1_S2_PKT2_lPT0_
	.p2align	8
	.type	_ZN9rocsparseL14nnz_kernel_colILi256EliDF16_EEv16rocsparse_order_T1_S2_PKT2_lPT0_,@function
_ZN9rocsparseL14nnz_kernel_colILi256EliDF16_EEv16rocsparse_order_T1_S2_PKT2_lPT0_: ; @_ZN9rocsparseL14nnz_kernel_colILi256EliDF16_EEv16rocsparse_order_T1_S2_PKT2_lPT0_
; %bb.0:
	s_load_dwordx2 s[8:9], s[4:5], 0x0
	s_load_dwordx4 s[0:3], s[4:5], 0x10
	s_waitcnt lgkmcnt(0)
	s_ashr_i32 s7, s9, 31
	s_lshr_b32 s7, s7, 24
	s_add_i32 s7, s9, s7
	s_and_b32 s10, s7, 0xffffff00
	s_cmp_eq_u32 s8, 1
	s_cbranch_scc1 .LBB15_6
; %bb.1:
	s_cmpk_lt_i32 s9, 0x100
	v_pk_mov_b32 v[2:3], 0, 0
	s_cbranch_scc1 .LBB15_7
; %bb.2:
	v_mad_u64_u32 v[2:3], s[12:13], s2, v0, 0
	v_mov_b32_e32 v4, v3
	s_ashr_i32 s7, s6, 31
	v_mad_u64_u32 v[4:5], s[12:13], s3, v0, v[4:5]
	s_lshl_b64 s[12:13], s[6:7], 1
	v_mov_b32_e32 v3, v4
	s_add_u32 s7, s0, s12
	v_lshlrev_b64 v[2:3], 1, v[2:3]
	s_addc_u32 s8, s1, s13
	v_mov_b32_e32 v1, s8
	v_add_co_u32_e32 v4, vcc, s7, v2
	s_lshl_b64 s[12:13], s[2:3], 9
	v_addc_co_u32_e32 v5, vcc, v1, v3, vcc
	s_mov_b32 s7, 0
	v_pk_mov_b32 v[2:3], 0, 0
	v_mov_b32_e32 v1, s13
	s_branch .LBB15_4
.LBB15_3:                               ;   in Loop: Header=BB15_4 Depth=1
	s_or_b64 exec, exec, s[14:15]
	s_addk_i32 s7, 0x100
	v_add_co_u32_e32 v4, vcc, s12, v4
	s_cmp_ge_i32 s7, s10
	v_addc_co_u32_e32 v5, vcc, v5, v1, vcc
	s_cbranch_scc1 .LBB15_7
.LBB15_4:                               ; =>This Inner Loop Header: Depth=1
	v_add_u32_e32 v6, s7, v0
	v_cmp_gt_i32_e32 vcc, s9, v6
	s_and_saveexec_b64 s[14:15], vcc
	s_cbranch_execz .LBB15_3
; %bb.5:                                ;   in Loop: Header=BB15_4 Depth=1
	global_load_ushort v6, v[4:5], off
	s_waitcnt vmcnt(0)
	v_cmp_neq_f16_e32 vcc, 0, v6
	v_cndmask_b32_e64 v6, 0, 1, vcc
	v_add_co_u32_e32 v2, vcc, v2, v6
	v_addc_co_u32_e32 v3, vcc, 0, v3, vcc
	s_branch .LBB15_3
.LBB15_6:
	s_mov_b64 s[12:13], 0
                                        ; implicit-def: $vgpr2_vgpr3
                                        ; implicit-def: $vgpr4_vgpr5
	s_cbranch_execnz .LBB15_10
	s_branch .LBB15_16
.LBB15_7:
	v_add_u32_e32 v1, s10, v0
	v_cmp_gt_i32_e32 vcc, s9, v1
	s_mov_b64 s[14:15], 0
	s_mov_b64 s[12:13], 0
                                        ; implicit-def: $vgpr4_vgpr5
	s_and_saveexec_b64 s[16:17], vcc
	s_xor_b64 s[16:17], exec, s[16:17]
	s_cbranch_execz .LBB15_9
; %bb.8:
	v_ashrrev_i32_e32 v4, 31, v1
	s_ashr_i32 s7, s6, 31
	v_mul_lo_u32 v7, v4, s2
	v_mad_u64_u32 v[4:5], s[18:19], v1, s2, 0
	v_mul_lo_u32 v6, v1, s3
	s_lshl_b64 s[18:19], s[6:7], 1
	v_add3_u32 v5, v5, v6, v7
	s_add_u32 s7, s18, s0
	v_lshlrev_b64 v[4:5], 1, v[4:5]
	s_addc_u32 s8, s19, s1
	v_mov_b32_e32 v1, s8
	v_add_co_u32_e32 v4, vcc, s7, v4
	s_mov_b64 s[12:13], exec
	v_addc_co_u32_e32 v5, vcc, v1, v5, vcc
.LBB15_9:
	s_or_b64 exec, exec, s[16:17]
	s_and_b64 vcc, exec, s[14:15]
	s_cbranch_vccz .LBB15_16
.LBB15_10:
	s_ashr_i32 s7, s6, 31
	s_mul_i32 s3, s6, s3
	s_mul_hi_u32 s8, s6, s2
	s_add_i32 s3, s8, s3
	s_mul_i32 s7, s7, s2
	s_add_i32 s15, s3, s7
	s_mul_i32 s14, s6, s2
	v_cmp_gt_i32_e32 vcc, s9, v0
	s_lshl_b64 s[14:15], s[14:15], 1
	v_cndmask_b32_e32 v1, 0, v0, vcc
	s_add_u32 s0, s0, s14
	s_addc_u32 s1, s1, s15
	v_lshlrev_b32_e32 v1, 1, v1
	v_mov_b32_e32 v2, s1
	v_add_co_u32_e32 v6, vcc, s0, v1
	s_mov_b32 s2, 0
	v_addc_co_u32_e32 v7, vcc, 0, v2, vcc
	s_cmpk_lt_i32 s9, 0x100
	v_pk_mov_b32 v[2:3], 0, 0
	s_cbranch_scc1 .LBB15_13
; %bb.11:
	v_pk_mov_b32 v[2:3], 0, 0
	v_pk_mov_b32 v[4:5], v[6:7], v[6:7] op_sel:[0,1]
.LBB15_12:                              ; =>This Inner Loop Header: Depth=1
	global_load_ushort v1, v[4:5], off
	v_add_co_u32_e32 v4, vcc, 0x200, v4
	v_addc_co_u32_e32 v5, vcc, 0, v5, vcc
	s_addk_i32 s2, 0x100
	s_cmp_ge_i32 s2, s10
	s_waitcnt vmcnt(0)
	v_cmp_neq_f16_e32 vcc, 0, v1
	v_cndmask_b32_e64 v1, 0, 1, vcc
	v_add_co_u32_e32 v2, vcc, v2, v1
	v_addc_co_u32_e32 v3, vcc, 0, v3, vcc
	s_cbranch_scc0 .LBB15_12
.LBB15_13:
	v_add_u32_e32 v1, s10, v0
	v_cmp_gt_i32_e32 vcc, s9, v1
                                        ; implicit-def: $vgpr4_vgpr5
	s_and_saveexec_b64 s[0:1], vcc
; %bb.14:
	s_ashr_i32 s11, s10, 31
	s_lshl_b64 s[2:3], s[10:11], 1
	v_mov_b32_e32 v1, s3
	v_add_co_u32_e32 v4, vcc, s2, v6
	v_addc_co_u32_e32 v5, vcc, v7, v1, vcc
	s_or_b64 s[12:13], s[12:13], exec
; %bb.15:
	s_or_b64 exec, exec, s[0:1]
.LBB15_16:
	s_and_saveexec_b64 s[0:1], s[12:13]
	s_cbranch_execz .LBB15_18
; %bb.17:
	global_load_ushort v1, v[4:5], off
	s_waitcnt vmcnt(0)
	v_cmp_neq_f16_e32 vcc, 0, v1
	v_cndmask_b32_e64 v1, 0, 1, vcc
	v_add_co_u32_e32 v2, vcc, v2, v1
	v_addc_co_u32_e32 v3, vcc, 0, v3, vcc
.LBB15_18:
	s_or_b64 exec, exec, s[0:1]
	v_lshlrev_b32_e32 v1, 3, v0
	s_cmpk_lt_i32 s9, 0x100
	s_mov_b64 s[0:1], -1
	v_cmp_eq_u32_e32 vcc, 0, v0
	ds_write_b64 v1, v[2:3]
	s_waitcnt lgkmcnt(0)
	s_cbranch_scc1 .LBB15_22
; %bb.19:
	s_and_b64 vcc, exec, s[0:1]
	s_cbranch_vccnz .LBB15_32
.LBB15_20:
	v_cmp_eq_u32_e32 vcc, 0, v0
	s_and_saveexec_b64 s[0:1], vcc
	s_cbranch_execnz .LBB15_49
.LBB15_21:
	s_endpgm
.LBB15_22:
	s_cmp_gt_i32 s9, 1
	s_cselect_b64 s[0:1], -1, 0
	s_mov_b32 s3, 1
	s_and_b64 s[10:11], vcc, s[0:1]
	s_barrier
	s_and_saveexec_b64 s[0:1], s[10:11]
	s_cbranch_execz .LBB15_31
; %bb.23:
	v_mov_b32_e32 v2, 0
	ds_read_b64 v[2:3], v2
	s_add_i32 s2, s9, -1
	s_add_i32 s7, s9, -2
	s_cmp_lt_u32 s7, 7
	s_cbranch_scc1 .LBB15_27
; %bb.24:
	s_and_b32 s3, s2, -8
	s_mov_b32 s8, 0
	s_mov_b32 s7, 8
.LBB15_25:                              ; =>This Inner Loop Header: Depth=1
	v_mov_b32_e32 v16, s7
	ds_read2_b64 v[4:7], v16 offset1:1
	ds_read2_b64 v[8:11], v16 offset0:2 offset1:3
	ds_read2_b64 v[12:15], v16 offset0:4 offset1:5
	;; [unrolled: 1-line block ×3, first 2 shown]
	s_mov_b32 s9, s8
	s_waitcnt lgkmcnt(3)
	v_add_co_u32_e32 v2, vcc, v2, v4
	v_addc_co_u32_e32 v3, vcc, v3, v5, vcc
	v_add_co_u32_e32 v2, vcc, v2, v6
	v_addc_co_u32_e32 v3, vcc, v3, v7, vcc
	s_waitcnt lgkmcnt(2)
	v_add_co_u32_e32 v2, vcc, v2, v8
	v_addc_co_u32_e32 v3, vcc, v3, v9, vcc
	v_add_co_u32_e32 v2, vcc, v2, v10
	v_addc_co_u32_e32 v3, vcc, v3, v11, vcc
	;; [unrolled: 5-line block ×3, first 2 shown]
	s_waitcnt lgkmcnt(0)
	v_add_co_u32_e32 v2, vcc, v2, v16
	v_addc_co_u32_e32 v3, vcc, v3, v17, vcc
	s_add_i32 s7, s7, 64
	s_add_i32 s8, s8, 8
	v_add_co_u32_e32 v2, vcc, v2, v18
	s_cmp_lg_u32 s3, s8
	v_addc_co_u32_e32 v3, vcc, v3, v19, vcc
	s_cbranch_scc1 .LBB15_25
; %bb.26:
	s_add_i32 s3, s9, 9
.LBB15_27:
	s_and_b32 s2, s2, 7
	s_cmp_eq_u32 s2, 0
	s_cbranch_scc1 .LBB15_30
; %bb.28:
	s_lshl_b32 s3, s3, 3
.LBB15_29:                              ; =>This Inner Loop Header: Depth=1
	v_mov_b32_e32 v4, s3
	ds_read_b64 v[4:5], v4
	s_add_i32 s3, s3, 8
	s_add_i32 s2, s2, -1
	s_cmp_lg_u32 s2, 0
	s_waitcnt lgkmcnt(0)
	v_add_co_u32_e32 v2, vcc, v2, v4
	v_addc_co_u32_e32 v3, vcc, v3, v5, vcc
	s_cbranch_scc1 .LBB15_29
.LBB15_30:
	v_mov_b32_e32 v4, 0
	s_waitcnt lgkmcnt(0)
	ds_write_b64 v4, v[2:3]
.LBB15_31:
	s_or_b64 exec, exec, s[0:1]
	s_waitcnt lgkmcnt(0)
	s_barrier
	s_branch .LBB15_20
.LBB15_32:
	s_movk_i32 s0, 0x80
	v_cmp_gt_u32_e32 vcc, s0, v0
	s_barrier
	s_and_saveexec_b64 s[0:1], vcc
	s_cbranch_execz .LBB15_34
; %bb.33:
	ds_read2st64_b64 v[2:5], v1 offset1:2
	s_waitcnt lgkmcnt(0)
	v_add_co_u32_e32 v2, vcc, v2, v4
	v_addc_co_u32_e32 v3, vcc, v3, v5, vcc
	ds_write_b64 v1, v[2:3]
.LBB15_34:
	s_or_b64 exec, exec, s[0:1]
	v_cmp_gt_u32_e32 vcc, 64, v0
	s_waitcnt lgkmcnt(0)
	s_barrier
	s_and_saveexec_b64 s[0:1], vcc
	s_cbranch_execz .LBB15_36
; %bb.35:
	ds_read2st64_b64 v[2:5], v1 offset1:1
	s_waitcnt lgkmcnt(0)
	v_add_co_u32_e32 v2, vcc, v2, v4
	v_addc_co_u32_e32 v3, vcc, v3, v5, vcc
	ds_write_b64 v1, v[2:3]
.LBB15_36:
	s_or_b64 exec, exec, s[0:1]
	v_cmp_gt_u32_e32 vcc, 32, v0
	s_waitcnt lgkmcnt(0)
	s_barrier
	s_and_saveexec_b64 s[0:1], vcc
	s_cbranch_execz .LBB15_38
; %bb.37:
	ds_read2_b64 v[2:5], v1 offset1:32
	s_waitcnt lgkmcnt(0)
	v_add_co_u32_e32 v2, vcc, v2, v4
	v_addc_co_u32_e32 v3, vcc, v3, v5, vcc
	ds_write_b64 v1, v[2:3]
.LBB15_38:
	s_or_b64 exec, exec, s[0:1]
	v_cmp_gt_u32_e32 vcc, 16, v0
	s_waitcnt lgkmcnt(0)
	s_barrier
	s_and_saveexec_b64 s[0:1], vcc
	s_cbranch_execz .LBB15_40
; %bb.39:
	ds_read2_b64 v[2:5], v1 offset1:16
	s_waitcnt lgkmcnt(0)
	v_add_co_u32_e32 v2, vcc, v2, v4
	v_addc_co_u32_e32 v3, vcc, v3, v5, vcc
	ds_write_b64 v1, v[2:3]
.LBB15_40:
	;; [unrolled: 13-line block ×5, first 2 shown]
	s_or_b64 exec, exec, s[0:1]
	v_cmp_eq_u32_e32 vcc, 0, v0
	s_waitcnt lgkmcnt(0)
	s_barrier
	s_and_saveexec_b64 s[0:1], vcc
	s_cbranch_execz .LBB15_48
; %bb.47:
	v_mov_b32_e32 v1, 0
	ds_read_b128 v[2:5], v1
	s_waitcnt lgkmcnt(0)
	v_add_co_u32_e32 v2, vcc, v2, v4
	v_addc_co_u32_e32 v3, vcc, v3, v5, vcc
	ds_write_b64 v1, v[2:3]
.LBB15_48:
	s_or_b64 exec, exec, s[0:1]
	s_waitcnt lgkmcnt(0)
	s_barrier
	v_cmp_eq_u32_e32 vcc, 0, v0
	s_and_saveexec_b64 s[0:1], vcc
	s_cbranch_execz .LBB15_21
.LBB15_49:
	s_load_dwordx2 s[0:1], s[4:5], 0x20
	v_mov_b32_e32 v2, 0
	ds_read_b64 v[0:1], v2
	s_ashr_i32 s7, s6, 31
	s_lshl_b64 s[2:3], s[6:7], 3
	s_waitcnt lgkmcnt(0)
	s_add_u32 s0, s0, s2
	s_addc_u32 s1, s1, s3
	global_store_dwordx2 v2, v[0:1], s[0:1]
	s_endpgm
	.section	.rodata,"a",@progbits
	.p2align	6, 0x0
	.amdhsa_kernel _ZN9rocsparseL14nnz_kernel_colILi256EliDF16_EEv16rocsparse_order_T1_S2_PKT2_lPT0_
		.amdhsa_group_segment_fixed_size 2048
		.amdhsa_private_segment_fixed_size 0
		.amdhsa_kernarg_size 40
		.amdhsa_user_sgpr_count 6
		.amdhsa_user_sgpr_private_segment_buffer 1
		.amdhsa_user_sgpr_dispatch_ptr 0
		.amdhsa_user_sgpr_queue_ptr 0
		.amdhsa_user_sgpr_kernarg_segment_ptr 1
		.amdhsa_user_sgpr_dispatch_id 0
		.amdhsa_user_sgpr_flat_scratch_init 0
		.amdhsa_user_sgpr_kernarg_preload_length 0
		.amdhsa_user_sgpr_kernarg_preload_offset 0
		.amdhsa_user_sgpr_private_segment_size 0
		.amdhsa_uses_dynamic_stack 0
		.amdhsa_system_sgpr_private_segment_wavefront_offset 0
		.amdhsa_system_sgpr_workgroup_id_x 1
		.amdhsa_system_sgpr_workgroup_id_y 0
		.amdhsa_system_sgpr_workgroup_id_z 0
		.amdhsa_system_sgpr_workgroup_info 0
		.amdhsa_system_vgpr_workitem_id 0
		.amdhsa_next_free_vgpr 20
		.amdhsa_next_free_sgpr 20
		.amdhsa_accum_offset 20
		.amdhsa_reserve_vcc 1
		.amdhsa_reserve_flat_scratch 0
		.amdhsa_float_round_mode_32 0
		.amdhsa_float_round_mode_16_64 0
		.amdhsa_float_denorm_mode_32 3
		.amdhsa_float_denorm_mode_16_64 3
		.amdhsa_dx10_clamp 1
		.amdhsa_ieee_mode 1
		.amdhsa_fp16_overflow 0
		.amdhsa_tg_split 0
		.amdhsa_exception_fp_ieee_invalid_op 0
		.amdhsa_exception_fp_denorm_src 0
		.amdhsa_exception_fp_ieee_div_zero 0
		.amdhsa_exception_fp_ieee_overflow 0
		.amdhsa_exception_fp_ieee_underflow 0
		.amdhsa_exception_fp_ieee_inexact 0
		.amdhsa_exception_int_div_zero 0
	.end_amdhsa_kernel
	.section	.text._ZN9rocsparseL14nnz_kernel_colILi256EliDF16_EEv16rocsparse_order_T1_S2_PKT2_lPT0_,"axG",@progbits,_ZN9rocsparseL14nnz_kernel_colILi256EliDF16_EEv16rocsparse_order_T1_S2_PKT2_lPT0_,comdat
.Lfunc_end15:
	.size	_ZN9rocsparseL14nnz_kernel_colILi256EliDF16_EEv16rocsparse_order_T1_S2_PKT2_lPT0_, .Lfunc_end15-_ZN9rocsparseL14nnz_kernel_colILi256EliDF16_EEv16rocsparse_order_T1_S2_PKT2_lPT0_
                                        ; -- End function
	.section	.AMDGPU.csdata,"",@progbits
; Kernel info:
; codeLenInByte = 1436
; NumSgprs: 24
; NumVgprs: 20
; NumAgprs: 0
; TotalNumVgprs: 20
; ScratchSize: 0
; MemoryBound: 0
; FloatMode: 240
; IeeeMode: 1
; LDSByteSize: 2048 bytes/workgroup (compile time only)
; SGPRBlocks: 2
; VGPRBlocks: 2
; NumSGPRsForWavesPerEU: 24
; NumVGPRsForWavesPerEU: 20
; AccumOffset: 20
; Occupancy: 8
; WaveLimiterHint : 0
; COMPUTE_PGM_RSRC2:SCRATCH_EN: 0
; COMPUTE_PGM_RSRC2:USER_SGPR: 6
; COMPUTE_PGM_RSRC2:TRAP_HANDLER: 0
; COMPUTE_PGM_RSRC2:TGID_X_EN: 1
; COMPUTE_PGM_RSRC2:TGID_Y_EN: 0
; COMPUTE_PGM_RSRC2:TGID_Z_EN: 0
; COMPUTE_PGM_RSRC2:TIDIG_COMP_CNT: 0
; COMPUTE_PGM_RSRC3_GFX90A:ACCUM_OFFSET: 4
; COMPUTE_PGM_RSRC3_GFX90A:TG_SPLIT: 0
	.section	.text._ZN9rocsparseL14nnz_kernel_rowILi64ELi16ElifEEv16rocsparse_order_T2_S2_PKT3_lPT1_,"axG",@progbits,_ZN9rocsparseL14nnz_kernel_rowILi64ELi16ElifEEv16rocsparse_order_T2_S2_PKT3_lPT1_,comdat
	.globl	_ZN9rocsparseL14nnz_kernel_rowILi64ELi16ElifEEv16rocsparse_order_T2_S2_PKT3_lPT1_ ; -- Begin function _ZN9rocsparseL14nnz_kernel_rowILi64ELi16ElifEEv16rocsparse_order_T2_S2_PKT3_lPT1_
	.p2align	8
	.type	_ZN9rocsparseL14nnz_kernel_rowILi64ELi16ElifEEv16rocsparse_order_T2_S2_PKT3_lPT1_,@function
_ZN9rocsparseL14nnz_kernel_rowILi64ELi16ElifEEv16rocsparse_order_T2_S2_PKT3_lPT1_: ; @_ZN9rocsparseL14nnz_kernel_rowILi64ELi16ElifEEv16rocsparse_order_T2_S2_PKT3_lPT1_
; %bb.0:
	s_load_dword s0, s[4:5], 0x34
	s_load_dwordx2 s[10:11], s[4:5], 0x20
	s_load_dwordx8 s[12:19], s[4:5], 0x0
	v_and_b32_e32 v1, 0x3ff, v0
	v_bfe_u32 v0, v0, 10, 10
	s_waitcnt lgkmcnt(0)
	s_and_b32 s0, s0, 0xffff
	v_mad_u32_u24 v33, v0, s0, v1
	s_ashr_i32 s0, s14, 31
	s_lshr_b32 s0, s0, 26
	s_mov_b32 s20, 0
	v_and_b32_e32 v35, 63, v33
	s_lshl_b32 s15, s6, 8
	s_add_i32 s33, s14, s0
	v_lshrrev_b32_e32 v0, 4, v33
	s_mov_b32 s21, s20
	v_or_b32_e32 v18, s15, v35
	s_andn2_b32 s33, s33, 63
	v_and_b32_e32 v16, 0x7ffffc, v0
	s_mov_b32 s22, s20
	s_mov_b32 s23, s20
	;; [unrolled: 1-line block ×6, first 2 shown]
	v_pk_mov_b32 v[0:1], s[20:21], s[20:21] op_sel:[0,1]
	v_cmp_gt_i32_e32 vcc, s33, v16
	v_pk_mov_b32 v[2:3], s[22:23], s[22:23] op_sel:[0,1]
	v_pk_mov_b32 v[4:5], s[24:25], s[24:25] op_sel:[0,1]
	v_pk_mov_b32 v[6:7], s[26:27], s[26:27] op_sel:[0,1]
	v_or_b32_e32 v36, 64, v18
	s_and_saveexec_b64 s[28:29], vcc
	s_cbranch_execz .LBB16_28
; %bb.1:
	v_or_b32_e32 v0, 0x80, v18
	v_cmp_gt_i32_e64 s[4:5], s13, v0
	v_or_b32_e32 v0, 0xc0, v18
	v_cmp_gt_i32_e64 s[6:7], s13, v0
	v_add_u32_e32 v0, s15, v35
	v_ashrrev_i32_e32 v1, 31, v0
	v_mul_lo_u32 v4, s18, v1
	v_mul_lo_u32 v5, s19, v0
	v_mad_u64_u32 v[2:3], s[8:9], s18, v0, 0
	v_add3_u32 v3, v3, v4, v5
	v_lshrrev_b32_e32 v8, 6, v33
	v_lshlrev_b64 v[2:3], 2, v[2:3]
	v_lshlrev_b32_e32 v9, 4, v8
	v_lshlrev_b32_e32 v10, 2, v8
	v_add_co_u32_e32 v20, vcc, v2, v9
	v_or_b32_e32 v5, 3, v10
	v_addc_co_u32_e32 v17, vcc, 0, v3, vcc
	v_mad_u64_u32 v[2:3], s[8:9], s18, v5, 0
	v_mov_b32_e32 v4, v3
	v_mad_u64_u32 v[4:5], s[8:9], s19, v5, v[4:5]
	v_mov_b32_e32 v3, v4
	v_lshlrev_b64 v[2:3], 2, v[2:3]
	v_lshlrev_b64 v[4:5], 2, v[0:1]
	v_add_u32_e32 v1, 64, v0
	v_add_co_u32_e32 v22, vcc, v2, v4
	v_ashrrev_i32_e32 v2, 31, v1
	v_addc_co_u32_e32 v19, vcc, v3, v5, vcc
	v_mul_lo_u32 v6, s18, v2
	v_mul_lo_u32 v7, s19, v1
	v_mad_u64_u32 v[2:3], s[8:9], s18, v1, 0
	v_add3_u32 v3, v3, v6, v7
	v_lshlrev_b64 v[2:3], 2, v[2:3]
	v_add_co_u32_e32 v24, vcc, v2, v9
	v_or_b32_e32 v1, 2, v10
	v_addc_co_u32_e32 v21, vcc, 0, v3, vcc
	v_mad_u64_u32 v[2:3], s[8:9], s18, v1, 0
	v_mov_b32_e32 v6, v3
	v_mad_u64_u32 v[6:7], s[8:9], s19, v1, v[6:7]
	v_mov_b32_e32 v3, v6
	v_lshlrev_b64 v[2:3], 2, v[2:3]
	v_add_u32_e32 v1, 0x80, v0
	v_add_co_u32_e32 v26, vcc, v2, v4
	v_ashrrev_i32_e32 v2, 31, v1
	v_addc_co_u32_e32 v23, vcc, v3, v5, vcc
	v_mul_lo_u32 v6, s18, v2
	v_mul_lo_u32 v7, s19, v1
	v_mad_u64_u32 v[2:3], s[8:9], s18, v1, 0
	v_add3_u32 v3, v3, v6, v7
	v_lshlrev_b64 v[2:3], 2, v[2:3]
	v_add_co_u32_e32 v28, vcc, v2, v9
	v_addc_co_u32_e32 v25, vcc, 0, v3, vcc
	v_pk_mov_b32 v[2:3], s[18:19], s[18:19] op_sel:[0,1]
	v_mad_u64_u32 v[2:3], s[8:9], s18, v10, v[2:3]
	v_mov_b32_e32 v6, v3
	v_mad_u64_u32 v[6:7], s[8:9], s19, v10, v[6:7]
	v_mov_b32_e32 v3, v6
	v_lshlrev_b64 v[2:3], 2, v[2:3]
	v_add_u32_e32 v0, 0xc0, v0
	v_add_co_u32_e32 v30, vcc, v2, v4
	v_ashrrev_i32_e32 v1, 31, v0
	v_addc_co_u32_e32 v27, vcc, v3, v5, vcc
	v_mul_lo_u32 v2, s18, v1
	v_mul_lo_u32 v3, s19, v0
	v_mad_u64_u32 v[0:1], s[8:9], s18, v0, 0
	v_add3_u32 v1, v1, v2, v3
	v_lshlrev_b64 v[0:1], 2, v[0:1]
	v_add_co_u32_e32 v32, vcc, v0, v9
	v_addc_co_u32_e32 v29, vcc, 0, v1, vcc
	v_mad_u64_u32 v[0:1], s[8:9], s18, v8, 0
	v_mov_b32_e32 v2, v1
	v_mad_u64_u32 v[2:3], s[8:9], s19, v8, v[2:3]
	v_mov_b32_e32 v1, v2
	v_lshlrev_b64 v[0:1], 4, v[0:1]
	v_add_co_u32_e32 v34, vcc, v0, v4
	s_cmp_lg_u32 s12, 1
	v_addc_co_u32_e32 v31, vcc, v1, v5, vcc
	v_pk_mov_b32 v[0:1], s[20:21], s[20:21] op_sel:[0,1]
	s_cselect_b64 s[30:31], -1, 0
	v_cmp_gt_i32_e64 s[0:1], s13, v18
	v_cmp_gt_i32_e64 s[2:3], s13, v36
	s_lshl_b64 s[34:35], s[18:19], 8
	s_mov_b64 s[36:37], 0
	v_pk_mov_b32 v[2:3], s[22:23], s[22:23] op_sel:[0,1]
	v_pk_mov_b32 v[4:5], s[24:25], s[24:25] op_sel:[0,1]
	;; [unrolled: 1-line block ×3, first 2 shown]
	s_branch .LBB16_4
.LBB16_2:                               ;   in Loop: Header=BB16_4 Depth=1
	v_pk_mov_b32 v[0:1], v[8:9], v[8:9] op_sel:[0,1]
	v_pk_mov_b32 v[2:3], v[10:11], v[10:11] op_sel:[0,1]
	;; [unrolled: 1-line block ×4, first 2 shown]
.LBB16_3:                               ;   in Loop: Header=BB16_4 Depth=1
	s_or_b64 exec, exec, s[20:21]
	v_add_co_u32_e32 v20, vcc, 0x100, v20
	v_addc_co_u32_e32 v17, vcc, 0, v17, vcc
	v_mov_b32_e32 v8, s35
	v_add_co_u32_e32 v22, vcc, s34, v22
	v_addc_co_u32_e32 v19, vcc, v19, v8, vcc
	v_add_co_u32_e32 v24, vcc, 0x100, v24
	v_addc_co_u32_e32 v21, vcc, 0, v21, vcc
	;; [unrolled: 2-line block ×5, first 2 shown]
	v_add_co_u32_e32 v32, vcc, 0x100, v32
	v_add_u32_e32 v16, 64, v16
	v_addc_co_u32_e32 v29, vcc, 0, v29, vcc
	v_cmp_le_i32_e32 vcc, s33, v16
	s_or_b64 s[36:37], vcc, s[36:37]
	v_add_co_u32_e32 v34, vcc, s34, v34
	v_addc_co_u32_e32 v31, vcc, v31, v8, vcc
	s_andn2_b64 exec, exec, s[36:37]
	s_cbranch_execz .LBB16_27
.LBB16_4:                               ; =>This Inner Loop Header: Depth=1
	v_cndmask_b32_e64 v8, 0, 1, s[30:31]
	v_cmp_ne_u32_e64 s[8:9], 1, v8
	s_and_saveexec_b64 s[20:21], s[0:1]
	s_cbranch_execnz .LBB16_8
; %bb.5:                                ;   in Loop: Header=BB16_4 Depth=1
	s_or_b64 exec, exec, s[20:21]
	s_and_saveexec_b64 s[20:21], s[2:3]
	s_cbranch_execnz .LBB16_13
.LBB16_6:                               ;   in Loop: Header=BB16_4 Depth=1
	s_or_b64 exec, exec, s[20:21]
	s_and_saveexec_b64 s[20:21], s[4:5]
	s_cbranch_execnz .LBB16_18
.LBB16_7:                               ;   in Loop: Header=BB16_4 Depth=1
	s_or_b64 exec, exec, s[20:21]
	s_and_saveexec_b64 s[20:21], s[6:7]
	s_cbranch_execz .LBB16_3
	s_branch .LBB16_23
.LBB16_8:                               ;   in Loop: Header=BB16_4 Depth=1
	s_and_b64 vcc, exec, s[8:9]
	s_cbranch_vccnz .LBB16_10
; %bb.9:                                ;   in Loop: Header=BB16_4 Depth=1
	v_mov_b32_e32 v9, s17
	v_add_co_u32_e32 v8, vcc, s16, v20
	v_addc_co_u32_e32 v9, vcc, v9, v17, vcc
	global_load_dwordx4 v[38:41], v[8:9], off
	v_add_co_u32_e32 v8, vcc, 1, v0
	v_addc_co_u32_e32 v9, vcc, 0, v1, vcc
	v_mov_b32_e32 v10, v2
	v_mov_b32_e32 v11, v3
	;; [unrolled: 1-line block ×6, first 2 shown]
	s_waitcnt vmcnt(0)
	v_cmp_neq_f32_e32 vcc, 0, v38
	v_cndmask_b32_e32 v8, v0, v8, vcc
	v_cndmask_b32_e32 v9, v1, v9, vcc
	v_add_co_u32_e32 v37, vcc, 1, v8
	v_addc_co_u32_e32 v38, vcc, 0, v9, vcc
	v_cmp_neq_f32_e32 vcc, 0, v39
	v_cndmask_b32_e32 v8, v8, v37, vcc
	v_cndmask_b32_e32 v9, v9, v38, vcc
	v_add_co_u32_e32 v37, vcc, 1, v8
	v_addc_co_u32_e32 v38, vcc, 0, v9, vcc
	;; [unrolled: 5-line block ×3, first 2 shown]
	v_cmp_neq_f32_e32 vcc, 0, v41
	v_cndmask_b32_e32 v9, v9, v38, vcc
	v_cndmask_b32_e32 v8, v8, v37, vcc
	s_cbranch_execz .LBB16_11
	s_branch .LBB16_12
.LBB16_10:                              ;   in Loop: Header=BB16_4 Depth=1
                                        ; implicit-def: $vgpr8_vgpr9_vgpr10_vgpr11_vgpr12_vgpr13_vgpr14_vgpr15
.LBB16_11:                              ;   in Loop: Header=BB16_4 Depth=1
	v_mov_b32_e32 v10, s17
	v_add_co_u32_e32 v8, vcc, s16, v34
	v_addc_co_u32_e32 v9, vcc, v10, v31, vcc
	global_load_dword v11, v[8:9], off
	v_add_co_u32_e32 v8, vcc, s16, v30
	v_addc_co_u32_e32 v9, vcc, v10, v27, vcc
	global_load_dword v12, v[8:9], off
	v_add_co_u32_e32 v8, vcc, s16, v26
	v_addc_co_u32_e32 v9, vcc, v10, v23, vcc
	global_load_dword v13, v[8:9], off
	v_add_co_u32_e32 v8, vcc, s16, v22
	v_addc_co_u32_e32 v9, vcc, v10, v19, vcc
	global_load_dword v8, v[8:9], off
	v_add_co_u32_e32 v9, vcc, 1, v0
	v_addc_co_u32_e32 v10, vcc, 0, v1, vcc
	s_waitcnt vmcnt(3)
	v_cmp_neq_f32_e32 vcc, 0, v11
	v_cndmask_b32_e32 v0, v0, v9, vcc
	v_cndmask_b32_e32 v1, v1, v10, vcc
	v_add_co_u32_e32 v9, vcc, 1, v0
	v_addc_co_u32_e32 v10, vcc, 0, v1, vcc
	s_waitcnt vmcnt(2)
	v_cmp_neq_f32_e32 vcc, 0, v12
	v_cndmask_b32_e32 v0, v0, v9, vcc
	v_cndmask_b32_e32 v1, v1, v10, vcc
	;; [unrolled: 6-line block ×4, first 2 shown]
	v_pk_mov_b32 v[14:15], v[6:7], v[6:7] op_sel:[0,1]
	v_pk_mov_b32 v[12:13], v[4:5], v[4:5] op_sel:[0,1]
	;; [unrolled: 1-line block ×4, first 2 shown]
.LBB16_12:                              ;   in Loop: Header=BB16_4 Depth=1
	v_pk_mov_b32 v[0:1], v[8:9], v[8:9] op_sel:[0,1]
	v_pk_mov_b32 v[2:3], v[10:11], v[10:11] op_sel:[0,1]
	;; [unrolled: 1-line block ×4, first 2 shown]
	s_or_b64 exec, exec, s[20:21]
	s_and_saveexec_b64 s[20:21], s[2:3]
	s_cbranch_execz .LBB16_6
.LBB16_13:                              ;   in Loop: Header=BB16_4 Depth=1
	s_and_b64 vcc, exec, s[8:9]
	s_cbranch_vccnz .LBB16_15
; %bb.14:                               ;   in Loop: Header=BB16_4 Depth=1
	v_mov_b32_e32 v9, s17
	v_add_co_u32_e32 v8, vcc, s16, v24
	v_addc_co_u32_e32 v9, vcc, v9, v21, vcc
	global_load_dwordx4 v[38:41], v[8:9], off
	v_add_co_u32_e32 v10, vcc, 1, v2
	v_addc_co_u32_e32 v11, vcc, 0, v3, vcc
	v_mov_b32_e32 v8, v0
	v_mov_b32_e32 v9, v1
	;; [unrolled: 1-line block ×6, first 2 shown]
	s_waitcnt vmcnt(0)
	v_cmp_neq_f32_e32 vcc, 0, v38
	v_cndmask_b32_e32 v10, v2, v10, vcc
	v_cndmask_b32_e32 v11, v3, v11, vcc
	v_add_co_u32_e32 v37, vcc, 1, v10
	v_addc_co_u32_e32 v38, vcc, 0, v11, vcc
	v_cmp_neq_f32_e32 vcc, 0, v39
	v_cndmask_b32_e32 v10, v10, v37, vcc
	v_cndmask_b32_e32 v11, v11, v38, vcc
	v_add_co_u32_e32 v37, vcc, 1, v10
	v_addc_co_u32_e32 v38, vcc, 0, v11, vcc
	;; [unrolled: 5-line block ×3, first 2 shown]
	v_cmp_neq_f32_e32 vcc, 0, v41
	v_cndmask_b32_e32 v11, v11, v38, vcc
	v_cndmask_b32_e32 v10, v10, v37, vcc
	s_cbranch_execz .LBB16_16
	s_branch .LBB16_17
.LBB16_15:                              ;   in Loop: Header=BB16_4 Depth=1
                                        ; implicit-def: $vgpr8_vgpr9_vgpr10_vgpr11_vgpr12_vgpr13_vgpr14_vgpr15
.LBB16_16:                              ;   in Loop: Header=BB16_4 Depth=1
	v_mov_b32_e32 v10, s17
	v_add_co_u32_e32 v8, vcc, s16, v34
	v_addc_co_u32_e32 v9, vcc, v10, v31, vcc
	global_load_dword v11, v[8:9], off offset:256
	v_add_co_u32_e32 v8, vcc, s16, v30
	v_addc_co_u32_e32 v9, vcc, v10, v27, vcc
	global_load_dword v12, v[8:9], off offset:256
	v_add_co_u32_e32 v8, vcc, s16, v26
	v_addc_co_u32_e32 v9, vcc, v10, v23, vcc
	global_load_dword v13, v[8:9], off offset:256
	v_add_co_u32_e32 v8, vcc, s16, v22
	v_addc_co_u32_e32 v9, vcc, v10, v19, vcc
	global_load_dword v8, v[8:9], off offset:256
	v_add_co_u32_e32 v9, vcc, 1, v2
	v_addc_co_u32_e32 v10, vcc, 0, v3, vcc
	s_waitcnt vmcnt(3)
	v_cmp_neq_f32_e32 vcc, 0, v11
	v_cndmask_b32_e32 v2, v2, v9, vcc
	v_cndmask_b32_e32 v3, v3, v10, vcc
	v_add_co_u32_e32 v9, vcc, 1, v2
	v_addc_co_u32_e32 v10, vcc, 0, v3, vcc
	s_waitcnt vmcnt(2)
	v_cmp_neq_f32_e32 vcc, 0, v12
	v_cndmask_b32_e32 v2, v2, v9, vcc
	v_cndmask_b32_e32 v3, v3, v10, vcc
	;; [unrolled: 6-line block ×4, first 2 shown]
	v_pk_mov_b32 v[14:15], v[6:7], v[6:7] op_sel:[0,1]
	v_pk_mov_b32 v[12:13], v[4:5], v[4:5] op_sel:[0,1]
	;; [unrolled: 1-line block ×4, first 2 shown]
.LBB16_17:                              ;   in Loop: Header=BB16_4 Depth=1
	v_pk_mov_b32 v[0:1], v[8:9], v[8:9] op_sel:[0,1]
	v_pk_mov_b32 v[2:3], v[10:11], v[10:11] op_sel:[0,1]
	;; [unrolled: 1-line block ×4, first 2 shown]
	s_or_b64 exec, exec, s[20:21]
	s_and_saveexec_b64 s[20:21], s[4:5]
	s_cbranch_execz .LBB16_7
.LBB16_18:                              ;   in Loop: Header=BB16_4 Depth=1
	s_and_b64 vcc, exec, s[8:9]
	s_cbranch_vccnz .LBB16_20
; %bb.19:                               ;   in Loop: Header=BB16_4 Depth=1
	v_mov_b32_e32 v9, s17
	v_add_co_u32_e32 v8, vcc, s16, v28
	v_addc_co_u32_e32 v9, vcc, v9, v25, vcc
	global_load_dwordx4 v[38:41], v[8:9], off
	v_add_co_u32_e32 v12, vcc, 1, v4
	v_addc_co_u32_e32 v13, vcc, 0, v5, vcc
	v_mov_b32_e32 v8, v0
	v_mov_b32_e32 v9, v1
	;; [unrolled: 1-line block ×6, first 2 shown]
	s_waitcnt vmcnt(0)
	v_cmp_neq_f32_e32 vcc, 0, v38
	v_cndmask_b32_e32 v12, v4, v12, vcc
	v_cndmask_b32_e32 v13, v5, v13, vcc
	v_add_co_u32_e32 v37, vcc, 1, v12
	v_addc_co_u32_e32 v38, vcc, 0, v13, vcc
	v_cmp_neq_f32_e32 vcc, 0, v39
	v_cndmask_b32_e32 v12, v12, v37, vcc
	v_cndmask_b32_e32 v13, v13, v38, vcc
	v_add_co_u32_e32 v37, vcc, 1, v12
	v_addc_co_u32_e32 v38, vcc, 0, v13, vcc
	v_cmp_neq_f32_e32 vcc, 0, v40
	v_cndmask_b32_e32 v12, v12, v37, vcc
	v_cndmask_b32_e32 v13, v13, v38, vcc
	v_add_co_u32_e32 v37, vcc, 1, v12
	v_addc_co_u32_e32 v38, vcc, 0, v13, vcc
	v_cmp_neq_f32_e32 vcc, 0, v41
	v_cndmask_b32_e32 v13, v13, v38, vcc
	v_cndmask_b32_e32 v12, v12, v37, vcc
	s_cbranch_execz .LBB16_21
	s_branch .LBB16_22
.LBB16_20:                              ;   in Loop: Header=BB16_4 Depth=1
                                        ; implicit-def: $vgpr8_vgpr9_vgpr10_vgpr11_vgpr12_vgpr13_vgpr14_vgpr15
.LBB16_21:                              ;   in Loop: Header=BB16_4 Depth=1
	v_mov_b32_e32 v10, s17
	v_add_co_u32_e32 v8, vcc, s16, v34
	v_addc_co_u32_e32 v9, vcc, v10, v31, vcc
	global_load_dword v11, v[8:9], off offset:512
	v_add_co_u32_e32 v8, vcc, s16, v30
	v_addc_co_u32_e32 v9, vcc, v10, v27, vcc
	global_load_dword v12, v[8:9], off offset:512
	;; [unrolled: 3-line block ×4, first 2 shown]
	v_add_co_u32_e32 v9, vcc, 1, v4
	v_addc_co_u32_e32 v10, vcc, 0, v5, vcc
	s_waitcnt vmcnt(3)
	v_cmp_neq_f32_e32 vcc, 0, v11
	v_cndmask_b32_e32 v4, v4, v9, vcc
	v_cndmask_b32_e32 v5, v5, v10, vcc
	v_add_co_u32_e32 v9, vcc, 1, v4
	v_addc_co_u32_e32 v10, vcc, 0, v5, vcc
	s_waitcnt vmcnt(2)
	v_cmp_neq_f32_e32 vcc, 0, v12
	v_cndmask_b32_e32 v4, v4, v9, vcc
	v_cndmask_b32_e32 v5, v5, v10, vcc
	v_add_co_u32_e32 v9, vcc, 1, v4
	v_addc_co_u32_e32 v10, vcc, 0, v5, vcc
	s_waitcnt vmcnt(1)
	v_cmp_neq_f32_e32 vcc, 0, v13
	v_cndmask_b32_e32 v4, v4, v9, vcc
	v_cndmask_b32_e32 v5, v5, v10, vcc
	v_add_co_u32_e32 v9, vcc, 1, v4
	v_addc_co_u32_e32 v10, vcc, 0, v5, vcc
	s_waitcnt vmcnt(0)
	v_cmp_neq_f32_e32 vcc, 0, v8
	v_cndmask_b32_e32 v5, v5, v10, vcc
	v_cndmask_b32_e32 v4, v4, v9, vcc
	v_pk_mov_b32 v[14:15], v[6:7], v[6:7] op_sel:[0,1]
	v_pk_mov_b32 v[12:13], v[4:5], v[4:5] op_sel:[0,1]
	;; [unrolled: 1-line block ×4, first 2 shown]
.LBB16_22:                              ;   in Loop: Header=BB16_4 Depth=1
	v_pk_mov_b32 v[0:1], v[8:9], v[8:9] op_sel:[0,1]
	v_pk_mov_b32 v[2:3], v[10:11], v[10:11] op_sel:[0,1]
	v_pk_mov_b32 v[4:5], v[12:13], v[12:13] op_sel:[0,1]
	v_pk_mov_b32 v[6:7], v[14:15], v[14:15] op_sel:[0,1]
	s_or_b64 exec, exec, s[20:21]
	s_and_saveexec_b64 s[20:21], s[6:7]
	s_cbranch_execz .LBB16_3
.LBB16_23:                              ;   in Loop: Header=BB16_4 Depth=1
	s_and_b64 vcc, exec, s[8:9]
	s_cbranch_vccnz .LBB16_25
; %bb.24:                               ;   in Loop: Header=BB16_4 Depth=1
	v_mov_b32_e32 v9, s17
	v_add_co_u32_e32 v8, vcc, s16, v32
	v_addc_co_u32_e32 v9, vcc, v9, v29, vcc
	global_load_dwordx4 v[38:41], v[8:9], off
	v_add_co_u32_e32 v14, vcc, 1, v6
	v_addc_co_u32_e32 v15, vcc, 0, v7, vcc
	v_mov_b32_e32 v8, v0
	v_mov_b32_e32 v9, v1
	;; [unrolled: 1-line block ×6, first 2 shown]
	s_waitcnt vmcnt(0)
	v_cmp_neq_f32_e32 vcc, 0, v38
	v_cndmask_b32_e32 v14, v6, v14, vcc
	v_cndmask_b32_e32 v15, v7, v15, vcc
	v_add_co_u32_e32 v37, vcc, 1, v14
	v_addc_co_u32_e32 v38, vcc, 0, v15, vcc
	v_cmp_neq_f32_e32 vcc, 0, v39
	v_cndmask_b32_e32 v14, v14, v37, vcc
	v_cndmask_b32_e32 v15, v15, v38, vcc
	v_add_co_u32_e32 v37, vcc, 1, v14
	v_addc_co_u32_e32 v38, vcc, 0, v15, vcc
	;; [unrolled: 5-line block ×3, first 2 shown]
	v_cmp_neq_f32_e32 vcc, 0, v41
	v_cndmask_b32_e32 v15, v15, v38, vcc
	v_cndmask_b32_e32 v14, v14, v37, vcc
	s_cbranch_execnz .LBB16_2
	s_branch .LBB16_26
.LBB16_25:                              ;   in Loop: Header=BB16_4 Depth=1
                                        ; implicit-def: $vgpr8_vgpr9_vgpr10_vgpr11_vgpr12_vgpr13_vgpr14_vgpr15
.LBB16_26:                              ;   in Loop: Header=BB16_4 Depth=1
	v_mov_b32_e32 v10, s17
	v_add_co_u32_e32 v8, vcc, s16, v34
	v_addc_co_u32_e32 v9, vcc, v10, v31, vcc
	global_load_dword v11, v[8:9], off offset:768
	v_add_co_u32_e32 v8, vcc, s16, v30
	v_addc_co_u32_e32 v9, vcc, v10, v27, vcc
	global_load_dword v12, v[8:9], off offset:768
	v_add_co_u32_e32 v8, vcc, s16, v26
	v_addc_co_u32_e32 v9, vcc, v10, v23, vcc
	global_load_dword v13, v[8:9], off offset:768
	v_add_co_u32_e32 v8, vcc, s16, v22
	v_addc_co_u32_e32 v9, vcc, v10, v19, vcc
	global_load_dword v8, v[8:9], off offset:768
	v_add_co_u32_e32 v9, vcc, 1, v6
	v_addc_co_u32_e32 v10, vcc, 0, v7, vcc
	s_waitcnt vmcnt(3)
	v_cmp_neq_f32_e32 vcc, 0, v11
	v_cndmask_b32_e32 v6, v6, v9, vcc
	v_cndmask_b32_e32 v7, v7, v10, vcc
	v_add_co_u32_e32 v9, vcc, 1, v6
	v_addc_co_u32_e32 v10, vcc, 0, v7, vcc
	s_waitcnt vmcnt(2)
	v_cmp_neq_f32_e32 vcc, 0, v12
	v_cndmask_b32_e32 v6, v6, v9, vcc
	v_cndmask_b32_e32 v7, v7, v10, vcc
	;; [unrolled: 6-line block ×4, first 2 shown]
	v_pk_mov_b32 v[14:15], v[6:7], v[6:7] op_sel:[0,1]
	v_pk_mov_b32 v[12:13], v[4:5], v[4:5] op_sel:[0,1]
	v_pk_mov_b32 v[10:11], v[2:3], v[2:3] op_sel:[0,1]
	v_pk_mov_b32 v[8:9], v[0:1], v[0:1] op_sel:[0,1]
	s_branch .LBB16_2
.LBB16_27:
	s_or_b64 exec, exec, s[36:37]
.LBB16_28:
	s_or_b64 exec, exec, s[28:29]
	s_sub_i32 s0, s14, s33
	s_cmp_lt_i32 s0, 1
	s_cbranch_scc1 .LBB16_126
; %bb.29:
	v_mov_b32_e32 v17, 0
	v_lshlrev_b64 v[8:9], 2, v[16:17]
	s_cmp_eq_u32 s12, 1
	v_mov_b32_e32 v10, s17
	v_add_co_u32_e32 v12, vcc, s16, v8
	s_cselect_b64 s[2:3], -1, 0
	s_cmp_lg_u32 s12, 1
	v_addc_co_u32_e32 v13, vcc, v10, v9, vcc
	s_cselect_b64 s[0:1], -1, 0
	v_cmp_gt_i32_e32 vcc, s13, v18
	v_ashrrev_i32_e32 v19, 31, v18
	s_and_saveexec_b64 s[4:5], vcc
	s_cbranch_execz .LBB16_53
; %bb.30:
	v_mul_lo_u32 v10, v18, s19
	v_mul_lo_u32 v11, v19, s18
	v_mad_u64_u32 v[8:9], s[6:7], v18, s18, 0
	v_add3_u32 v9, v9, v10, v11
	v_lshlrev_b64 v[8:9], 2, v[8:9]
	v_add_co_u32_e32 v8, vcc, v12, v8
	v_addc_co_u32_e32 v9, vcc, v13, v9, vcc
	v_lshlrev_b64 v[10:11], 2, v[18:19]
	v_mov_b32_e32 v15, s17
	v_add_co_u32_e32 v14, vcc, s16, v10
	v_addc_co_u32_e32 v15, vcc, v15, v11, vcc
	v_cmp_gt_i32_e32 vcc, s14, v16
	s_and_saveexec_b64 s[6:7], vcc
	s_cbranch_execz .LBB16_34
; %bb.31:
	s_andn2_b64 vcc, exec, s[2:3]
	v_pk_mov_b32 v[10:11], v[8:9], v[8:9] op_sel:[0,1]
	s_cbranch_vccnz .LBB16_33
; %bb.32:
	v_mad_u64_u32 v[10:11], s[8:9], v16, s18, 0
	v_mov_b32_e32 v20, v11
	v_mad_u64_u32 v[20:21], s[8:9], v16, s19, v[20:21]
	v_mov_b32_e32 v11, v20
	v_lshlrev_b64 v[10:11], 2, v[10:11]
	v_add_co_u32_e32 v10, vcc, v14, v10
	v_addc_co_u32_e32 v11, vcc, v15, v11, vcc
.LBB16_33:
	global_load_dword v10, v[10:11], off
	s_waitcnt vmcnt(0)
	v_cmp_neq_f32_e32 vcc, 0, v10
	v_cndmask_b32_e64 v10, 0, 1, vcc
	v_add_co_u32_e32 v0, vcc, v0, v10
	v_addc_co_u32_e32 v1, vcc, 0, v1, vcc
.LBB16_34:
	s_or_b64 exec, exec, s[6:7]
	v_or_b32_e32 v17, 1, v16
	v_cmp_gt_i32_e32 vcc, s14, v17
	s_and_saveexec_b64 s[6:7], vcc
	s_cbranch_execz .LBB16_40
; %bb.35:
	s_andn2_b64 vcc, exec, s[0:1]
	s_cbranch_vccnz .LBB16_37
; %bb.36:
	v_add_co_u32_e32 v10, vcc, 4, v8
	v_addc_co_u32_e32 v11, vcc, 0, v9, vcc
	s_cbranch_execz .LBB16_38
	s_branch .LBB16_39
.LBB16_37:
                                        ; implicit-def: $vgpr10_vgpr11
.LBB16_38:
	v_mad_u64_u32 v[10:11], s[8:9], v17, s18, 0
	v_mov_b32_e32 v20, v11
	v_mad_u64_u32 v[20:21], s[8:9], v17, s19, v[20:21]
	v_mov_b32_e32 v11, v20
	v_lshlrev_b64 v[10:11], 2, v[10:11]
	v_add_co_u32_e32 v10, vcc, v14, v10
	v_addc_co_u32_e32 v11, vcc, v15, v11, vcc
.LBB16_39:
	global_load_dword v10, v[10:11], off
	s_waitcnt vmcnt(0)
	v_cmp_neq_f32_e32 vcc, 0, v10
	v_cndmask_b32_e64 v10, 0, 1, vcc
	v_add_co_u32_e32 v0, vcc, v0, v10
	v_addc_co_u32_e32 v1, vcc, 0, v1, vcc
.LBB16_40:
	s_or_b64 exec, exec, s[6:7]
	v_or_b32_e32 v17, 2, v16
	v_cmp_gt_i32_e32 vcc, s14, v17
	s_and_saveexec_b64 s[6:7], vcc
	s_cbranch_execz .LBB16_46
; %bb.41:
	s_andn2_b64 vcc, exec, s[0:1]
	s_cbranch_vccnz .LBB16_43
; %bb.42:
	v_add_co_u32_e32 v10, vcc, 8, v8
	v_addc_co_u32_e32 v11, vcc, 0, v9, vcc
	s_cbranch_execz .LBB16_44
	s_branch .LBB16_45
.LBB16_43:
                                        ; implicit-def: $vgpr10_vgpr11
.LBB16_44:
	v_mad_u64_u32 v[10:11], s[8:9], v17, s18, 0
	v_mov_b32_e32 v20, v11
	v_mad_u64_u32 v[20:21], s[8:9], v17, s19, v[20:21]
	v_mov_b32_e32 v11, v20
	v_lshlrev_b64 v[10:11], 2, v[10:11]
	v_add_co_u32_e32 v10, vcc, v14, v10
	v_addc_co_u32_e32 v11, vcc, v15, v11, vcc
.LBB16_45:
	global_load_dword v10, v[10:11], off
	s_waitcnt vmcnt(0)
	v_cmp_neq_f32_e32 vcc, 0, v10
	v_cndmask_b32_e64 v10, 0, 1, vcc
	v_add_co_u32_e32 v0, vcc, v0, v10
	v_addc_co_u32_e32 v1, vcc, 0, v1, vcc
.LBB16_46:
	s_or_b64 exec, exec, s[6:7]
	v_or_b32_e32 v10, 3, v16
	v_cmp_gt_i32_e32 vcc, s14, v10
	s_and_saveexec_b64 s[6:7], vcc
	s_cbranch_execz .LBB16_52
; %bb.47:
	s_andn2_b64 vcc, exec, s[0:1]
	s_cbranch_vccnz .LBB16_49
; %bb.48:
	v_add_co_u32_e32 v8, vcc, 12, v8
	v_addc_co_u32_e32 v9, vcc, 0, v9, vcc
	s_cbranch_execz .LBB16_50
	s_branch .LBB16_51
.LBB16_49:
                                        ; implicit-def: $vgpr8_vgpr9
.LBB16_50:
	v_mad_u64_u32 v[8:9], s[8:9], v10, s18, 0
	v_mov_b32_e32 v20, v9
	v_mad_u64_u32 v[10:11], s[8:9], v10, s19, v[20:21]
	v_mov_b32_e32 v9, v10
	v_lshlrev_b64 v[8:9], 2, v[8:9]
	v_add_co_u32_e32 v8, vcc, v14, v8
	v_addc_co_u32_e32 v9, vcc, v15, v9, vcc
.LBB16_51:
	global_load_dword v8, v[8:9], off
	s_waitcnt vmcnt(0)
	v_cmp_neq_f32_e32 vcc, 0, v8
	v_cndmask_b32_e64 v8, 0, 1, vcc
	v_add_co_u32_e32 v0, vcc, v0, v8
	v_addc_co_u32_e32 v1, vcc, 0, v1, vcc
.LBB16_52:
	s_or_b64 exec, exec, s[6:7]
.LBB16_53:
	s_or_b64 exec, exec, s[4:5]
	v_cmp_gt_i32_e32 vcc, s13, v36
	s_and_saveexec_b64 s[4:5], vcc
	s_cbranch_execz .LBB16_77
; %bb.54:
	v_ashrrev_i32_e32 v8, 31, v36
	v_mul_lo_u32 v10, v36, s19
	v_mul_lo_u32 v11, v8, s18
	v_mad_u64_u32 v[8:9], s[6:7], v36, s18, 0
	v_add3_u32 v9, v9, v10, v11
	v_lshlrev_b64 v[8:9], 2, v[8:9]
	v_add_co_u32_e32 v8, vcc, v12, v8
	v_addc_co_u32_e32 v9, vcc, v13, v9, vcc
	v_lshlrev_b64 v[10:11], 2, v[18:19]
	v_mov_b32_e32 v15, s17
	v_add_co_u32_e32 v14, vcc, s16, v10
	v_addc_co_u32_e32 v15, vcc, v15, v11, vcc
	v_cmp_gt_i32_e32 vcc, s14, v16
	s_and_saveexec_b64 s[6:7], vcc
	s_cbranch_execz .LBB16_58
; %bb.55:
	s_andn2_b64 vcc, exec, s[2:3]
	v_pk_mov_b32 v[10:11], v[8:9], v[8:9] op_sel:[0,1]
	s_cbranch_vccnz .LBB16_57
; %bb.56:
	v_mad_u64_u32 v[10:11], s[8:9], v16, s18, 0
	v_mov_b32_e32 v20, v11
	v_mad_u64_u32 v[20:21], s[8:9], v16, s19, v[20:21]
	v_mov_b32_e32 v11, v20
	v_lshlrev_b64 v[10:11], 2, v[10:11]
	v_add_co_u32_e32 v10, vcc, v14, v10
	v_addc_co_u32_e32 v11, vcc, v15, v11, vcc
	v_add_co_u32_e32 v10, vcc, 0x100, v10
	v_addc_co_u32_e32 v11, vcc, 0, v11, vcc
.LBB16_57:
	global_load_dword v10, v[10:11], off
	s_waitcnt vmcnt(0)
	v_cmp_neq_f32_e32 vcc, 0, v10
	v_cndmask_b32_e64 v10, 0, 1, vcc
	v_add_co_u32_e32 v2, vcc, v2, v10
	v_addc_co_u32_e32 v3, vcc, 0, v3, vcc
.LBB16_58:
	s_or_b64 exec, exec, s[6:7]
	v_or_b32_e32 v17, 1, v16
	v_cmp_gt_i32_e32 vcc, s14, v17
	s_and_saveexec_b64 s[6:7], vcc
	s_cbranch_execz .LBB16_64
; %bb.59:
	s_andn2_b64 vcc, exec, s[0:1]
	s_cbranch_vccnz .LBB16_61
; %bb.60:
	v_add_co_u32_e32 v10, vcc, 4, v8
	v_addc_co_u32_e32 v11, vcc, 0, v9, vcc
	s_cbranch_execz .LBB16_62
	s_branch .LBB16_63
.LBB16_61:
                                        ; implicit-def: $vgpr10_vgpr11
.LBB16_62:
	v_mad_u64_u32 v[10:11], s[8:9], v17, s18, 0
	v_mov_b32_e32 v20, v11
	v_mad_u64_u32 v[20:21], s[8:9], v17, s19, v[20:21]
	v_mov_b32_e32 v11, v20
	v_lshlrev_b64 v[10:11], 2, v[10:11]
	v_add_co_u32_e32 v10, vcc, v14, v10
	v_addc_co_u32_e32 v11, vcc, v15, v11, vcc
	v_add_co_u32_e32 v10, vcc, 0x100, v10
	v_addc_co_u32_e32 v11, vcc, 0, v11, vcc
.LBB16_63:
	global_load_dword v10, v[10:11], off
	s_waitcnt vmcnt(0)
	v_cmp_neq_f32_e32 vcc, 0, v10
	v_cndmask_b32_e64 v10, 0, 1, vcc
	v_add_co_u32_e32 v2, vcc, v2, v10
	v_addc_co_u32_e32 v3, vcc, 0, v3, vcc
.LBB16_64:
	s_or_b64 exec, exec, s[6:7]
	v_or_b32_e32 v17, 2, v16
	v_cmp_gt_i32_e32 vcc, s14, v17
	s_and_saveexec_b64 s[6:7], vcc
	s_cbranch_execz .LBB16_70
; %bb.65:
	s_andn2_b64 vcc, exec, s[0:1]
	s_cbranch_vccnz .LBB16_67
; %bb.66:
	v_add_co_u32_e32 v10, vcc, 8, v8
	v_addc_co_u32_e32 v11, vcc, 0, v9, vcc
	s_cbranch_execz .LBB16_68
	s_branch .LBB16_69
.LBB16_67:
                                        ; implicit-def: $vgpr10_vgpr11
.LBB16_68:
	v_mad_u64_u32 v[10:11], s[8:9], v17, s18, 0
	v_mov_b32_e32 v20, v11
	v_mad_u64_u32 v[20:21], s[8:9], v17, s19, v[20:21]
	v_mov_b32_e32 v11, v20
	v_lshlrev_b64 v[10:11], 2, v[10:11]
	v_add_co_u32_e32 v10, vcc, v14, v10
	v_addc_co_u32_e32 v11, vcc, v15, v11, vcc
	v_add_co_u32_e32 v10, vcc, 0x100, v10
	v_addc_co_u32_e32 v11, vcc, 0, v11, vcc
.LBB16_69:
	global_load_dword v10, v[10:11], off
	s_waitcnt vmcnt(0)
	v_cmp_neq_f32_e32 vcc, 0, v10
	v_cndmask_b32_e64 v10, 0, 1, vcc
	v_add_co_u32_e32 v2, vcc, v2, v10
	v_addc_co_u32_e32 v3, vcc, 0, v3, vcc
.LBB16_70:
	s_or_b64 exec, exec, s[6:7]
	v_or_b32_e32 v10, 3, v16
	v_cmp_gt_i32_e32 vcc, s14, v10
	s_and_saveexec_b64 s[6:7], vcc
	s_cbranch_execz .LBB16_76
; %bb.71:
	s_andn2_b64 vcc, exec, s[0:1]
	s_cbranch_vccnz .LBB16_73
; %bb.72:
	v_add_co_u32_e32 v8, vcc, 12, v8
	v_addc_co_u32_e32 v9, vcc, 0, v9, vcc
	s_cbranch_execz .LBB16_74
	s_branch .LBB16_75
.LBB16_73:
                                        ; implicit-def: $vgpr8_vgpr9
.LBB16_74:
	v_mad_u64_u32 v[8:9], s[8:9], v10, s18, 0
	v_mov_b32_e32 v20, v9
	v_mad_u64_u32 v[10:11], s[8:9], v10, s19, v[20:21]
	v_mov_b32_e32 v9, v10
	v_lshlrev_b64 v[8:9], 2, v[8:9]
	v_add_co_u32_e32 v8, vcc, v14, v8
	v_addc_co_u32_e32 v9, vcc, v15, v9, vcc
	v_add_co_u32_e32 v8, vcc, 0x100, v8
	v_addc_co_u32_e32 v9, vcc, 0, v9, vcc
.LBB16_75:
	global_load_dword v8, v[8:9], off
	s_waitcnt vmcnt(0)
	v_cmp_neq_f32_e32 vcc, 0, v8
	v_cndmask_b32_e64 v8, 0, 1, vcc
	v_add_co_u32_e32 v2, vcc, v2, v8
	v_addc_co_u32_e32 v3, vcc, 0, v3, vcc
.LBB16_76:
	s_or_b64 exec, exec, s[6:7]
.LBB16_77:
	s_or_b64 exec, exec, s[4:5]
	v_or_b32_e32 v8, 0x80, v18
	v_cmp_gt_i32_e32 vcc, s13, v8
	s_and_saveexec_b64 s[4:5], vcc
	s_cbranch_execz .LBB16_101
; %bb.78:
	v_ashrrev_i32_e32 v9, 31, v8
	v_mul_lo_u32 v10, v8, s19
	v_mul_lo_u32 v11, v9, s18
	v_mad_u64_u32 v[8:9], s[6:7], v8, s18, 0
	v_add3_u32 v9, v9, v10, v11
	v_lshlrev_b64 v[8:9], 2, v[8:9]
	v_add_co_u32_e32 v8, vcc, v12, v8
	v_addc_co_u32_e32 v9, vcc, v13, v9, vcc
	v_lshlrev_b64 v[10:11], 2, v[18:19]
	v_mov_b32_e32 v15, s17
	v_add_co_u32_e32 v14, vcc, s16, v10
	v_addc_co_u32_e32 v15, vcc, v15, v11, vcc
	v_cmp_gt_i32_e32 vcc, s14, v16
	s_and_saveexec_b64 s[6:7], vcc
	s_cbranch_execz .LBB16_82
; %bb.79:
	s_andn2_b64 vcc, exec, s[2:3]
	v_pk_mov_b32 v[10:11], v[8:9], v[8:9] op_sel:[0,1]
	s_cbranch_vccnz .LBB16_81
; %bb.80:
	v_mad_u64_u32 v[10:11], s[8:9], v16, s18, 0
	v_mov_b32_e32 v20, v11
	v_mad_u64_u32 v[20:21], s[8:9], v16, s19, v[20:21]
	v_mov_b32_e32 v11, v20
	v_lshlrev_b64 v[10:11], 2, v[10:11]
	v_add_co_u32_e32 v10, vcc, v14, v10
	v_addc_co_u32_e32 v11, vcc, v15, v11, vcc
	v_add_co_u32_e32 v10, vcc, 0x200, v10
	v_addc_co_u32_e32 v11, vcc, 0, v11, vcc
.LBB16_81:
	global_load_dword v10, v[10:11], off
	s_waitcnt vmcnt(0)
	v_cmp_neq_f32_e32 vcc, 0, v10
	v_cndmask_b32_e64 v10, 0, 1, vcc
	v_add_co_u32_e32 v4, vcc, v4, v10
	v_addc_co_u32_e32 v5, vcc, 0, v5, vcc
.LBB16_82:
	s_or_b64 exec, exec, s[6:7]
	v_or_b32_e32 v17, 1, v16
	v_cmp_gt_i32_e32 vcc, s14, v17
	s_and_saveexec_b64 s[6:7], vcc
	s_cbranch_execz .LBB16_88
; %bb.83:
	s_andn2_b64 vcc, exec, s[0:1]
	s_cbranch_vccnz .LBB16_85
; %bb.84:
	v_add_co_u32_e32 v10, vcc, 4, v8
	v_addc_co_u32_e32 v11, vcc, 0, v9, vcc
	s_cbranch_execz .LBB16_86
	s_branch .LBB16_87
.LBB16_85:
                                        ; implicit-def: $vgpr10_vgpr11
.LBB16_86:
	v_mad_u64_u32 v[10:11], s[8:9], v17, s18, 0
	v_mov_b32_e32 v20, v11
	v_mad_u64_u32 v[20:21], s[8:9], v17, s19, v[20:21]
	v_mov_b32_e32 v11, v20
	v_lshlrev_b64 v[10:11], 2, v[10:11]
	v_add_co_u32_e32 v10, vcc, v14, v10
	v_addc_co_u32_e32 v11, vcc, v15, v11, vcc
	v_add_co_u32_e32 v10, vcc, 0x200, v10
	v_addc_co_u32_e32 v11, vcc, 0, v11, vcc
.LBB16_87:
	global_load_dword v10, v[10:11], off
	s_waitcnt vmcnt(0)
	v_cmp_neq_f32_e32 vcc, 0, v10
	v_cndmask_b32_e64 v10, 0, 1, vcc
	v_add_co_u32_e32 v4, vcc, v4, v10
	v_addc_co_u32_e32 v5, vcc, 0, v5, vcc
.LBB16_88:
	s_or_b64 exec, exec, s[6:7]
	v_or_b32_e32 v17, 2, v16
	v_cmp_gt_i32_e32 vcc, s14, v17
	s_and_saveexec_b64 s[6:7], vcc
	s_cbranch_execz .LBB16_94
; %bb.89:
	s_andn2_b64 vcc, exec, s[0:1]
	s_cbranch_vccnz .LBB16_91
; %bb.90:
	v_add_co_u32_e32 v10, vcc, 8, v8
	v_addc_co_u32_e32 v11, vcc, 0, v9, vcc
	s_cbranch_execz .LBB16_92
	s_branch .LBB16_93
.LBB16_91:
                                        ; implicit-def: $vgpr10_vgpr11
.LBB16_92:
	v_mad_u64_u32 v[10:11], s[8:9], v17, s18, 0
	v_mov_b32_e32 v20, v11
	v_mad_u64_u32 v[20:21], s[8:9], v17, s19, v[20:21]
	v_mov_b32_e32 v11, v20
	v_lshlrev_b64 v[10:11], 2, v[10:11]
	v_add_co_u32_e32 v10, vcc, v14, v10
	v_addc_co_u32_e32 v11, vcc, v15, v11, vcc
	v_add_co_u32_e32 v10, vcc, 0x200, v10
	v_addc_co_u32_e32 v11, vcc, 0, v11, vcc
.LBB16_93:
	global_load_dword v10, v[10:11], off
	s_waitcnt vmcnt(0)
	v_cmp_neq_f32_e32 vcc, 0, v10
	v_cndmask_b32_e64 v10, 0, 1, vcc
	v_add_co_u32_e32 v4, vcc, v4, v10
	v_addc_co_u32_e32 v5, vcc, 0, v5, vcc
.LBB16_94:
	s_or_b64 exec, exec, s[6:7]
	v_or_b32_e32 v10, 3, v16
	v_cmp_gt_i32_e32 vcc, s14, v10
	s_and_saveexec_b64 s[6:7], vcc
	s_cbranch_execz .LBB16_100
; %bb.95:
	s_andn2_b64 vcc, exec, s[0:1]
	s_cbranch_vccnz .LBB16_97
; %bb.96:
	v_add_co_u32_e32 v8, vcc, 12, v8
	v_addc_co_u32_e32 v9, vcc, 0, v9, vcc
	s_cbranch_execz .LBB16_98
	s_branch .LBB16_99
.LBB16_97:
                                        ; implicit-def: $vgpr8_vgpr9
.LBB16_98:
	v_mad_u64_u32 v[8:9], s[8:9], v10, s18, 0
	v_mov_b32_e32 v20, v9
	v_mad_u64_u32 v[10:11], s[8:9], v10, s19, v[20:21]
	v_mov_b32_e32 v9, v10
	v_lshlrev_b64 v[8:9], 2, v[8:9]
	v_add_co_u32_e32 v8, vcc, v14, v8
	v_addc_co_u32_e32 v9, vcc, v15, v9, vcc
	v_add_co_u32_e32 v8, vcc, 0x200, v8
	v_addc_co_u32_e32 v9, vcc, 0, v9, vcc
.LBB16_99:
	global_load_dword v8, v[8:9], off
	s_waitcnt vmcnt(0)
	v_cmp_neq_f32_e32 vcc, 0, v8
	v_cndmask_b32_e64 v8, 0, 1, vcc
	v_add_co_u32_e32 v4, vcc, v4, v8
	v_addc_co_u32_e32 v5, vcc, 0, v5, vcc
.LBB16_100:
	s_or_b64 exec, exec, s[6:7]
.LBB16_101:
	s_or_b64 exec, exec, s[4:5]
	v_or_b32_e32 v8, 0xc0, v18
	v_cmp_gt_i32_e32 vcc, s13, v8
	s_and_saveexec_b64 s[4:5], vcc
	s_cbranch_execz .LBB16_125
; %bb.102:
	v_ashrrev_i32_e32 v9, 31, v8
	v_mul_lo_u32 v10, v8, s19
	v_mul_lo_u32 v11, v9, s18
	v_mad_u64_u32 v[8:9], s[6:7], v8, s18, 0
	v_add3_u32 v9, v9, v10, v11
	v_lshlrev_b64 v[8:9], 2, v[8:9]
	v_add_co_u32_e32 v8, vcc, v12, v8
	v_addc_co_u32_e32 v9, vcc, v13, v9, vcc
	v_lshlrev_b64 v[10:11], 2, v[18:19]
	v_mov_b32_e32 v13, s17
	v_add_co_u32_e32 v12, vcc, s16, v10
	v_addc_co_u32_e32 v13, vcc, v13, v11, vcc
	v_cmp_gt_i32_e32 vcc, s14, v16
	s_and_saveexec_b64 s[6:7], vcc
	s_cbranch_execz .LBB16_106
; %bb.103:
	s_andn2_b64 vcc, exec, s[2:3]
	v_pk_mov_b32 v[10:11], v[8:9], v[8:9] op_sel:[0,1]
	s_cbranch_vccnz .LBB16_105
; %bb.104:
	v_mad_u64_u32 v[10:11], s[2:3], v16, s18, 0
	v_mov_b32_e32 v14, v11
	v_mad_u64_u32 v[14:15], s[2:3], v16, s19, v[14:15]
	v_mov_b32_e32 v11, v14
	v_lshlrev_b64 v[10:11], 2, v[10:11]
	v_add_co_u32_e32 v10, vcc, v12, v10
	v_addc_co_u32_e32 v11, vcc, v13, v11, vcc
	v_add_co_u32_e32 v10, vcc, 0x300, v10
	v_addc_co_u32_e32 v11, vcc, 0, v11, vcc
.LBB16_105:
	global_load_dword v10, v[10:11], off
	s_waitcnt vmcnt(0)
	v_cmp_neq_f32_e32 vcc, 0, v10
	v_cndmask_b32_e64 v10, 0, 1, vcc
	v_add_co_u32_e32 v6, vcc, v6, v10
	v_addc_co_u32_e32 v7, vcc, 0, v7, vcc
.LBB16_106:
	s_or_b64 exec, exec, s[6:7]
	v_or_b32_e32 v14, 1, v16
	v_cndmask_b32_e64 v10, 0, 1, s[0:1]
	v_cmp_gt_i32_e32 vcc, s14, v14
	v_cmp_ne_u32_e64 s[0:1], 1, v10
	s_and_saveexec_b64 s[2:3], vcc
	s_cbranch_execz .LBB16_112
; %bb.107:
	s_and_b64 vcc, exec, s[0:1]
	s_cbranch_vccnz .LBB16_109
; %bb.108:
	v_add_co_u32_e32 v10, vcc, 4, v8
	v_addc_co_u32_e32 v11, vcc, 0, v9, vcc
	s_cbranch_execz .LBB16_110
	s_branch .LBB16_111
.LBB16_109:
                                        ; implicit-def: $vgpr10_vgpr11
.LBB16_110:
	v_mad_u64_u32 v[10:11], s[6:7], v14, s18, 0
	v_mov_b32_e32 v18, v11
	v_mad_u64_u32 v[14:15], s[6:7], v14, s19, v[18:19]
	v_mov_b32_e32 v11, v14
	v_lshlrev_b64 v[10:11], 2, v[10:11]
	v_add_co_u32_e32 v10, vcc, v12, v10
	v_addc_co_u32_e32 v11, vcc, v13, v11, vcc
	v_add_co_u32_e32 v10, vcc, 0x300, v10
	v_addc_co_u32_e32 v11, vcc, 0, v11, vcc
.LBB16_111:
	global_load_dword v10, v[10:11], off
	s_waitcnt vmcnt(0)
	v_cmp_neq_f32_e32 vcc, 0, v10
	v_cndmask_b32_e64 v10, 0, 1, vcc
	v_add_co_u32_e32 v6, vcc, v6, v10
	v_addc_co_u32_e32 v7, vcc, 0, v7, vcc
.LBB16_112:
	s_or_b64 exec, exec, s[2:3]
	v_or_b32_e32 v14, 2, v16
	v_cmp_gt_i32_e32 vcc, s14, v14
	s_and_saveexec_b64 s[2:3], vcc
	s_cbranch_execz .LBB16_118
; %bb.113:
	s_and_b64 vcc, exec, s[0:1]
	s_cbranch_vccnz .LBB16_115
; %bb.114:
	v_add_co_u32_e32 v10, vcc, 8, v8
	v_addc_co_u32_e32 v11, vcc, 0, v9, vcc
	s_cbranch_execz .LBB16_116
	s_branch .LBB16_117
.LBB16_115:
                                        ; implicit-def: $vgpr10_vgpr11
.LBB16_116:
	v_mad_u64_u32 v[10:11], s[6:7], v14, s18, 0
	v_mov_b32_e32 v18, v11
	v_mad_u64_u32 v[14:15], s[6:7], v14, s19, v[18:19]
	v_mov_b32_e32 v11, v14
	v_lshlrev_b64 v[10:11], 2, v[10:11]
	v_add_co_u32_e32 v10, vcc, v12, v10
	v_addc_co_u32_e32 v11, vcc, v13, v11, vcc
	v_add_co_u32_e32 v10, vcc, 0x300, v10
	v_addc_co_u32_e32 v11, vcc, 0, v11, vcc
.LBB16_117:
	global_load_dword v10, v[10:11], off
	s_waitcnt vmcnt(0)
	v_cmp_neq_f32_e32 vcc, 0, v10
	v_cndmask_b32_e64 v10, 0, 1, vcc
	v_add_co_u32_e32 v6, vcc, v6, v10
	v_addc_co_u32_e32 v7, vcc, 0, v7, vcc
.LBB16_118:
	s_or_b64 exec, exec, s[2:3]
	v_or_b32_e32 v10, 3, v16
	v_cmp_gt_i32_e32 vcc, s14, v10
	s_and_saveexec_b64 s[2:3], vcc
	s_cbranch_execz .LBB16_124
; %bb.119:
	s_and_b64 vcc, exec, s[0:1]
	s_cbranch_vccnz .LBB16_121
; %bb.120:
	v_add_co_u32_e32 v8, vcc, 12, v8
	v_addc_co_u32_e32 v9, vcc, 0, v9, vcc
	s_cbranch_execz .LBB16_122
	s_branch .LBB16_123
.LBB16_121:
                                        ; implicit-def: $vgpr8_vgpr9
.LBB16_122:
	v_mad_u64_u32 v[8:9], s[0:1], v10, s18, 0
	v_mov_b32_e32 v14, v9
	v_mad_u64_u32 v[10:11], s[0:1], v10, s19, v[14:15]
	v_mov_b32_e32 v9, v10
	v_lshlrev_b64 v[8:9], 2, v[8:9]
	v_add_co_u32_e32 v8, vcc, v12, v8
	v_addc_co_u32_e32 v9, vcc, v13, v9, vcc
	v_add_co_u32_e32 v8, vcc, 0x300, v8
	v_addc_co_u32_e32 v9, vcc, 0, v9, vcc
.LBB16_123:
	global_load_dword v8, v[8:9], off
	s_waitcnt vmcnt(0)
	v_cmp_neq_f32_e32 vcc, 0, v8
	v_cndmask_b32_e64 v8, 0, 1, vcc
	v_add_co_u32_e32 v6, vcc, v6, v8
	v_addc_co_u32_e32 v7, vcc, 0, v7, vcc
.LBB16_124:
	s_or_b64 exec, exec, s[2:3]
.LBB16_125:
	s_or_b64 exec, exec, s[4:5]
.LBB16_126:
	v_lshlrev_b32_e32 v8, 2, v33
	s_mov_b32 s0, 0x1fffff00
	v_and_or_b32 v8, v8, s0, v35
	s_movk_i32 s0, 0x100
	v_lshlrev_b32_e32 v8, 3, v8
	v_cmp_gt_u32_e32 vcc, s0, v33
	ds_write2st64_b64 v8, v[0:1], v[2:3] offset1:1
	ds_write2st64_b64 v8, v[4:5], v[6:7] offset0:2 offset1:3
	s_waitcnt lgkmcnt(0)
	s_barrier
	s_and_saveexec_b64 s[0:1], vcc
	s_cbranch_execz .LBB16_129
; %bb.127:
	v_lshlrev_b32_e32 v1, 3, v33
	ds_read2st64_b64 v[2:5], v1 offset1:4
	ds_read2st64_b64 v[6:9], v1 offset0:8 offset1:12
	v_add_u32_e32 v0, s15, v33
	s_waitcnt lgkmcnt(1)
	v_add_co_u32_e32 v2, vcc, v2, v4
	v_addc_co_u32_e32 v3, vcc, v3, v5, vcc
	s_waitcnt lgkmcnt(0)
	v_add_co_u32_e32 v6, vcc, v2, v6
	v_addc_co_u32_e32 v7, vcc, v3, v7, vcc
	ds_read2st64_b64 v[2:5], v1 offset0:16 offset1:20
	v_add_co_u32_e32 v6, vcc, v6, v8
	v_addc_co_u32_e32 v7, vcc, v7, v9, vcc
	s_waitcnt lgkmcnt(0)
	v_add_co_u32_e32 v2, vcc, v6, v2
	v_addc_co_u32_e32 v3, vcc, v7, v3, vcc
	ds_read2st64_b64 v[6:9], v1 offset0:24 offset1:28
	;; [unrolled: 6-line block ×6, first 2 shown]
	v_add_co_u32_e32 v2, vcc, v2, v4
	v_addc_co_u32_e32 v3, vcc, v3, v5, vcc
	s_waitcnt lgkmcnt(0)
	v_add_co_u32_e32 v2, vcc, v2, v6
	v_addc_co_u32_e32 v3, vcc, v3, v7, vcc
	v_add_co_u32_e32 v2, vcc, v2, v8
	v_addc_co_u32_e32 v3, vcc, v3, v9, vcc
	v_cmp_gt_i32_e32 vcc, s13, v0
	ds_write_b64 v1, v[2:3]
	s_and_b64 exec, exec, vcc
	s_cbranch_execz .LBB16_129
; %bb.128:
	v_ashrrev_i32_e32 v1, 31, v0
	v_lshlrev_b64 v[0:1], 3, v[0:1]
	v_mov_b32_e32 v4, s11
	v_add_co_u32_e32 v0, vcc, s10, v0
	v_addc_co_u32_e32 v1, vcc, v4, v1, vcc
	global_store_dwordx2 v[0:1], v[2:3], off
.LBB16_129:
	s_endpgm
	.section	.rodata,"a",@progbits
	.p2align	6, 0x0
	.amdhsa_kernel _ZN9rocsparseL14nnz_kernel_rowILi64ELi16ElifEEv16rocsparse_order_T2_S2_PKT3_lPT1_
		.amdhsa_group_segment_fixed_size 32768
		.amdhsa_private_segment_fixed_size 0
		.amdhsa_kernarg_size 296
		.amdhsa_user_sgpr_count 6
		.amdhsa_user_sgpr_private_segment_buffer 1
		.amdhsa_user_sgpr_dispatch_ptr 0
		.amdhsa_user_sgpr_queue_ptr 0
		.amdhsa_user_sgpr_kernarg_segment_ptr 1
		.amdhsa_user_sgpr_dispatch_id 0
		.amdhsa_user_sgpr_flat_scratch_init 0
		.amdhsa_user_sgpr_kernarg_preload_length 0
		.amdhsa_user_sgpr_kernarg_preload_offset 0
		.amdhsa_user_sgpr_private_segment_size 0
		.amdhsa_uses_dynamic_stack 0
		.amdhsa_system_sgpr_private_segment_wavefront_offset 0
		.amdhsa_system_sgpr_workgroup_id_x 1
		.amdhsa_system_sgpr_workgroup_id_y 0
		.amdhsa_system_sgpr_workgroup_id_z 0
		.amdhsa_system_sgpr_workgroup_info 0
		.amdhsa_system_vgpr_workitem_id 1
		.amdhsa_next_free_vgpr 42
		.amdhsa_next_free_sgpr 38
		.amdhsa_accum_offset 44
		.amdhsa_reserve_vcc 1
		.amdhsa_reserve_flat_scratch 0
		.amdhsa_float_round_mode_32 0
		.amdhsa_float_round_mode_16_64 0
		.amdhsa_float_denorm_mode_32 3
		.amdhsa_float_denorm_mode_16_64 3
		.amdhsa_dx10_clamp 1
		.amdhsa_ieee_mode 1
		.amdhsa_fp16_overflow 0
		.amdhsa_tg_split 0
		.amdhsa_exception_fp_ieee_invalid_op 0
		.amdhsa_exception_fp_denorm_src 0
		.amdhsa_exception_fp_ieee_div_zero 0
		.amdhsa_exception_fp_ieee_overflow 0
		.amdhsa_exception_fp_ieee_underflow 0
		.amdhsa_exception_fp_ieee_inexact 0
		.amdhsa_exception_int_div_zero 0
	.end_amdhsa_kernel
	.section	.text._ZN9rocsparseL14nnz_kernel_rowILi64ELi16ElifEEv16rocsparse_order_T2_S2_PKT3_lPT1_,"axG",@progbits,_ZN9rocsparseL14nnz_kernel_rowILi64ELi16ElifEEv16rocsparse_order_T2_S2_PKT3_lPT1_,comdat
.Lfunc_end16:
	.size	_ZN9rocsparseL14nnz_kernel_rowILi64ELi16ElifEEv16rocsparse_order_T2_S2_PKT3_lPT1_, .Lfunc_end16-_ZN9rocsparseL14nnz_kernel_rowILi64ELi16ElifEEv16rocsparse_order_T2_S2_PKT3_lPT1_
                                        ; -- End function
	.section	.AMDGPU.csdata,"",@progbits
; Kernel info:
; codeLenInByte = 5148
; NumSgprs: 42
; NumVgprs: 42
; NumAgprs: 0
; TotalNumVgprs: 42
; ScratchSize: 0
; MemoryBound: 0
; FloatMode: 240
; IeeeMode: 1
; LDSByteSize: 32768 bytes/workgroup (compile time only)
; SGPRBlocks: 5
; VGPRBlocks: 5
; NumSGPRsForWavesPerEU: 42
; NumVGPRsForWavesPerEU: 42
; AccumOffset: 44
; Occupancy: 8
; WaveLimiterHint : 0
; COMPUTE_PGM_RSRC2:SCRATCH_EN: 0
; COMPUTE_PGM_RSRC2:USER_SGPR: 6
; COMPUTE_PGM_RSRC2:TRAP_HANDLER: 0
; COMPUTE_PGM_RSRC2:TGID_X_EN: 1
; COMPUTE_PGM_RSRC2:TGID_Y_EN: 0
; COMPUTE_PGM_RSRC2:TGID_Z_EN: 0
; COMPUTE_PGM_RSRC2:TIDIG_COMP_CNT: 1
; COMPUTE_PGM_RSRC3_GFX90A:ACCUM_OFFSET: 10
; COMPUTE_PGM_RSRC3_GFX90A:TG_SPLIT: 0
	.section	.text._ZN9rocsparseL14nnz_kernel_colILi256ElifEEv16rocsparse_order_T1_S2_PKT2_lPT0_,"axG",@progbits,_ZN9rocsparseL14nnz_kernel_colILi256ElifEEv16rocsparse_order_T1_S2_PKT2_lPT0_,comdat
	.globl	_ZN9rocsparseL14nnz_kernel_colILi256ElifEEv16rocsparse_order_T1_S2_PKT2_lPT0_ ; -- Begin function _ZN9rocsparseL14nnz_kernel_colILi256ElifEEv16rocsparse_order_T1_S2_PKT2_lPT0_
	.p2align	8
	.type	_ZN9rocsparseL14nnz_kernel_colILi256ElifEEv16rocsparse_order_T1_S2_PKT2_lPT0_,@function
_ZN9rocsparseL14nnz_kernel_colILi256ElifEEv16rocsparse_order_T1_S2_PKT2_lPT0_: ; @_ZN9rocsparseL14nnz_kernel_colILi256ElifEEv16rocsparse_order_T1_S2_PKT2_lPT0_
; %bb.0:
	s_load_dwordx2 s[8:9], s[4:5], 0x0
	s_load_dwordx4 s[0:3], s[4:5], 0x10
	s_waitcnt lgkmcnt(0)
	s_ashr_i32 s7, s9, 31
	s_lshr_b32 s7, s7, 24
	s_add_i32 s7, s9, s7
	s_and_b32 s10, s7, 0xffffff00
	s_cmp_eq_u32 s8, 1
	s_cbranch_scc1 .LBB17_6
; %bb.1:
	s_cmpk_lt_i32 s9, 0x100
	v_pk_mov_b32 v[2:3], 0, 0
	s_cbranch_scc1 .LBB17_7
; %bb.2:
	v_mad_u64_u32 v[2:3], s[12:13], s2, v0, 0
	v_mov_b32_e32 v4, v3
	s_ashr_i32 s7, s6, 31
	v_mad_u64_u32 v[4:5], s[12:13], s3, v0, v[4:5]
	s_lshl_b64 s[12:13], s[6:7], 2
	v_mov_b32_e32 v3, v4
	s_add_u32 s7, s0, s12
	v_lshlrev_b64 v[2:3], 2, v[2:3]
	s_addc_u32 s8, s1, s13
	v_mov_b32_e32 v1, s8
	v_add_co_u32_e32 v4, vcc, s7, v2
	s_lshl_b64 s[12:13], s[2:3], 10
	v_addc_co_u32_e32 v5, vcc, v1, v3, vcc
	s_mov_b32 s7, 0
	v_pk_mov_b32 v[2:3], 0, 0
	v_mov_b32_e32 v1, s13
	s_branch .LBB17_4
.LBB17_3:                               ;   in Loop: Header=BB17_4 Depth=1
	s_or_b64 exec, exec, s[14:15]
	s_addk_i32 s7, 0x100
	v_add_co_u32_e32 v4, vcc, s12, v4
	s_cmp_ge_i32 s7, s10
	v_addc_co_u32_e32 v5, vcc, v5, v1, vcc
	s_cbranch_scc1 .LBB17_7
.LBB17_4:                               ; =>This Inner Loop Header: Depth=1
	v_add_u32_e32 v6, s7, v0
	v_cmp_gt_i32_e32 vcc, s9, v6
	s_and_saveexec_b64 s[14:15], vcc
	s_cbranch_execz .LBB17_3
; %bb.5:                                ;   in Loop: Header=BB17_4 Depth=1
	global_load_dword v6, v[4:5], off
	s_waitcnt vmcnt(0)
	v_cmp_neq_f32_e32 vcc, 0, v6
	v_cndmask_b32_e64 v6, 0, 1, vcc
	v_add_co_u32_e32 v2, vcc, v2, v6
	v_addc_co_u32_e32 v3, vcc, 0, v3, vcc
	s_branch .LBB17_3
.LBB17_6:
	s_mov_b64 s[12:13], 0
                                        ; implicit-def: $vgpr2_vgpr3
                                        ; implicit-def: $vgpr4_vgpr5
	s_cbranch_execnz .LBB17_10
	s_branch .LBB17_16
.LBB17_7:
	v_add_u32_e32 v1, s10, v0
	v_cmp_gt_i32_e32 vcc, s9, v1
	s_mov_b64 s[14:15], 0
	s_mov_b64 s[12:13], 0
                                        ; implicit-def: $vgpr4_vgpr5
	s_and_saveexec_b64 s[16:17], vcc
	s_xor_b64 s[16:17], exec, s[16:17]
	s_cbranch_execz .LBB17_9
; %bb.8:
	v_ashrrev_i32_e32 v4, 31, v1
	s_ashr_i32 s7, s6, 31
	v_mul_lo_u32 v7, v4, s2
	v_mad_u64_u32 v[4:5], s[18:19], v1, s2, 0
	v_mul_lo_u32 v6, v1, s3
	s_lshl_b64 s[18:19], s[6:7], 2
	v_add3_u32 v5, v5, v6, v7
	s_add_u32 s7, s18, s0
	v_lshlrev_b64 v[4:5], 2, v[4:5]
	s_addc_u32 s8, s19, s1
	v_mov_b32_e32 v1, s8
	v_add_co_u32_e32 v4, vcc, s7, v4
	s_mov_b64 s[12:13], exec
	v_addc_co_u32_e32 v5, vcc, v1, v5, vcc
.LBB17_9:
	s_or_b64 exec, exec, s[16:17]
	s_and_b64 vcc, exec, s[14:15]
	s_cbranch_vccz .LBB17_16
.LBB17_10:
	s_ashr_i32 s7, s6, 31
	s_mul_i32 s3, s6, s3
	s_mul_hi_u32 s8, s6, s2
	s_add_i32 s3, s8, s3
	s_mul_i32 s7, s7, s2
	s_add_i32 s15, s3, s7
	s_mul_i32 s14, s6, s2
	v_cmp_gt_i32_e32 vcc, s9, v0
	s_lshl_b64 s[14:15], s[14:15], 2
	v_cndmask_b32_e32 v1, 0, v0, vcc
	s_add_u32 s0, s0, s14
	s_addc_u32 s1, s1, s15
	v_lshlrev_b32_e32 v1, 2, v1
	v_mov_b32_e32 v2, s1
	v_add_co_u32_e32 v6, vcc, s0, v1
	s_mov_b32 s2, 0
	v_addc_co_u32_e32 v7, vcc, 0, v2, vcc
	s_cmpk_lt_i32 s9, 0x100
	v_pk_mov_b32 v[2:3], 0, 0
	s_cbranch_scc1 .LBB17_13
; %bb.11:
	v_pk_mov_b32 v[2:3], 0, 0
	v_pk_mov_b32 v[4:5], v[6:7], v[6:7] op_sel:[0,1]
.LBB17_12:                              ; =>This Inner Loop Header: Depth=1
	global_load_dword v1, v[4:5], off
	v_add_co_u32_e32 v4, vcc, 0x400, v4
	v_addc_co_u32_e32 v5, vcc, 0, v5, vcc
	s_addk_i32 s2, 0x100
	s_cmp_ge_i32 s2, s10
	s_waitcnt vmcnt(0)
	v_cmp_neq_f32_e32 vcc, 0, v1
	v_cndmask_b32_e64 v1, 0, 1, vcc
	v_add_co_u32_e32 v2, vcc, v2, v1
	v_addc_co_u32_e32 v3, vcc, 0, v3, vcc
	s_cbranch_scc0 .LBB17_12
.LBB17_13:
	v_add_u32_e32 v1, s10, v0
	v_cmp_gt_i32_e32 vcc, s9, v1
                                        ; implicit-def: $vgpr4_vgpr5
	s_and_saveexec_b64 s[0:1], vcc
; %bb.14:
	s_ashr_i32 s11, s10, 31
	s_lshl_b64 s[2:3], s[10:11], 2
	v_mov_b32_e32 v1, s3
	v_add_co_u32_e32 v4, vcc, s2, v6
	v_addc_co_u32_e32 v5, vcc, v7, v1, vcc
	s_or_b64 s[12:13], s[12:13], exec
; %bb.15:
	s_or_b64 exec, exec, s[0:1]
.LBB17_16:
	s_and_saveexec_b64 s[0:1], s[12:13]
	s_cbranch_execz .LBB17_18
; %bb.17:
	global_load_dword v1, v[4:5], off
	s_waitcnt vmcnt(0)
	v_cmp_neq_f32_e32 vcc, 0, v1
	v_cndmask_b32_e64 v1, 0, 1, vcc
	v_add_co_u32_e32 v2, vcc, v2, v1
	v_addc_co_u32_e32 v3, vcc, 0, v3, vcc
.LBB17_18:
	s_or_b64 exec, exec, s[0:1]
	v_lshlrev_b32_e32 v1, 3, v0
	s_cmpk_lt_i32 s9, 0x100
	s_mov_b64 s[0:1], -1
	v_cmp_eq_u32_e32 vcc, 0, v0
	ds_write_b64 v1, v[2:3]
	s_waitcnt lgkmcnt(0)
	s_cbranch_scc1 .LBB17_22
; %bb.19:
	s_and_b64 vcc, exec, s[0:1]
	s_cbranch_vccnz .LBB17_32
.LBB17_20:
	v_cmp_eq_u32_e32 vcc, 0, v0
	s_and_saveexec_b64 s[0:1], vcc
	s_cbranch_execnz .LBB17_49
.LBB17_21:
	s_endpgm
.LBB17_22:
	s_cmp_gt_i32 s9, 1
	s_cselect_b64 s[0:1], -1, 0
	s_mov_b32 s3, 1
	s_and_b64 s[10:11], vcc, s[0:1]
	s_barrier
	s_and_saveexec_b64 s[0:1], s[10:11]
	s_cbranch_execz .LBB17_31
; %bb.23:
	v_mov_b32_e32 v2, 0
	ds_read_b64 v[2:3], v2
	s_add_i32 s2, s9, -1
	s_add_i32 s7, s9, -2
	s_cmp_lt_u32 s7, 7
	s_cbranch_scc1 .LBB17_27
; %bb.24:
	s_and_b32 s3, s2, -8
	s_mov_b32 s8, 0
	s_mov_b32 s7, 8
.LBB17_25:                              ; =>This Inner Loop Header: Depth=1
	v_mov_b32_e32 v16, s7
	ds_read2_b64 v[4:7], v16 offset1:1
	ds_read2_b64 v[8:11], v16 offset0:2 offset1:3
	ds_read2_b64 v[12:15], v16 offset0:4 offset1:5
	;; [unrolled: 1-line block ×3, first 2 shown]
	s_mov_b32 s9, s8
	s_waitcnt lgkmcnt(3)
	v_add_co_u32_e32 v2, vcc, v2, v4
	v_addc_co_u32_e32 v3, vcc, v3, v5, vcc
	v_add_co_u32_e32 v2, vcc, v2, v6
	v_addc_co_u32_e32 v3, vcc, v3, v7, vcc
	s_waitcnt lgkmcnt(2)
	v_add_co_u32_e32 v2, vcc, v2, v8
	v_addc_co_u32_e32 v3, vcc, v3, v9, vcc
	v_add_co_u32_e32 v2, vcc, v2, v10
	v_addc_co_u32_e32 v3, vcc, v3, v11, vcc
	;; [unrolled: 5-line block ×3, first 2 shown]
	s_waitcnt lgkmcnt(0)
	v_add_co_u32_e32 v2, vcc, v2, v16
	v_addc_co_u32_e32 v3, vcc, v3, v17, vcc
	s_add_i32 s7, s7, 64
	s_add_i32 s8, s8, 8
	v_add_co_u32_e32 v2, vcc, v2, v18
	s_cmp_lg_u32 s3, s8
	v_addc_co_u32_e32 v3, vcc, v3, v19, vcc
	s_cbranch_scc1 .LBB17_25
; %bb.26:
	s_add_i32 s3, s9, 9
.LBB17_27:
	s_and_b32 s2, s2, 7
	s_cmp_eq_u32 s2, 0
	s_cbranch_scc1 .LBB17_30
; %bb.28:
	s_lshl_b32 s3, s3, 3
.LBB17_29:                              ; =>This Inner Loop Header: Depth=1
	v_mov_b32_e32 v4, s3
	ds_read_b64 v[4:5], v4
	s_add_i32 s3, s3, 8
	s_add_i32 s2, s2, -1
	s_cmp_lg_u32 s2, 0
	s_waitcnt lgkmcnt(0)
	v_add_co_u32_e32 v2, vcc, v2, v4
	v_addc_co_u32_e32 v3, vcc, v3, v5, vcc
	s_cbranch_scc1 .LBB17_29
.LBB17_30:
	v_mov_b32_e32 v4, 0
	s_waitcnt lgkmcnt(0)
	ds_write_b64 v4, v[2:3]
.LBB17_31:
	s_or_b64 exec, exec, s[0:1]
	s_waitcnt lgkmcnt(0)
	s_barrier
	s_branch .LBB17_20
.LBB17_32:
	s_movk_i32 s0, 0x80
	v_cmp_gt_u32_e32 vcc, s0, v0
	s_barrier
	s_and_saveexec_b64 s[0:1], vcc
	s_cbranch_execz .LBB17_34
; %bb.33:
	ds_read2st64_b64 v[2:5], v1 offset1:2
	s_waitcnt lgkmcnt(0)
	v_add_co_u32_e32 v2, vcc, v2, v4
	v_addc_co_u32_e32 v3, vcc, v3, v5, vcc
	ds_write_b64 v1, v[2:3]
.LBB17_34:
	s_or_b64 exec, exec, s[0:1]
	v_cmp_gt_u32_e32 vcc, 64, v0
	s_waitcnt lgkmcnt(0)
	s_barrier
	s_and_saveexec_b64 s[0:1], vcc
	s_cbranch_execz .LBB17_36
; %bb.35:
	ds_read2st64_b64 v[2:5], v1 offset1:1
	s_waitcnt lgkmcnt(0)
	v_add_co_u32_e32 v2, vcc, v2, v4
	v_addc_co_u32_e32 v3, vcc, v3, v5, vcc
	ds_write_b64 v1, v[2:3]
.LBB17_36:
	s_or_b64 exec, exec, s[0:1]
	v_cmp_gt_u32_e32 vcc, 32, v0
	s_waitcnt lgkmcnt(0)
	s_barrier
	s_and_saveexec_b64 s[0:1], vcc
	s_cbranch_execz .LBB17_38
; %bb.37:
	ds_read2_b64 v[2:5], v1 offset1:32
	s_waitcnt lgkmcnt(0)
	v_add_co_u32_e32 v2, vcc, v2, v4
	v_addc_co_u32_e32 v3, vcc, v3, v5, vcc
	ds_write_b64 v1, v[2:3]
.LBB17_38:
	s_or_b64 exec, exec, s[0:1]
	v_cmp_gt_u32_e32 vcc, 16, v0
	s_waitcnt lgkmcnt(0)
	s_barrier
	s_and_saveexec_b64 s[0:1], vcc
	s_cbranch_execz .LBB17_40
; %bb.39:
	ds_read2_b64 v[2:5], v1 offset1:16
	s_waitcnt lgkmcnt(0)
	v_add_co_u32_e32 v2, vcc, v2, v4
	v_addc_co_u32_e32 v3, vcc, v3, v5, vcc
	ds_write_b64 v1, v[2:3]
.LBB17_40:
	s_or_b64 exec, exec, s[0:1]
	v_cmp_gt_u32_e32 vcc, 8, v0
	s_waitcnt lgkmcnt(0)
	s_barrier
	s_and_saveexec_b64 s[0:1], vcc
	s_cbranch_execz .LBB17_42
; %bb.41:
	ds_read2_b64 v[2:5], v1 offset1:8
	s_waitcnt lgkmcnt(0)
	v_add_co_u32_e32 v2, vcc, v2, v4
	v_addc_co_u32_e32 v3, vcc, v3, v5, vcc
	ds_write_b64 v1, v[2:3]
.LBB17_42:
	s_or_b64 exec, exec, s[0:1]
	v_cmp_gt_u32_e32 vcc, 4, v0
	s_waitcnt lgkmcnt(0)
	s_barrier
	s_and_saveexec_b64 s[0:1], vcc
	s_cbranch_execz .LBB17_44
; %bb.43:
	ds_read2_b64 v[2:5], v1 offset1:4
	s_waitcnt lgkmcnt(0)
	v_add_co_u32_e32 v2, vcc, v2, v4
	v_addc_co_u32_e32 v3, vcc, v3, v5, vcc
	ds_write_b64 v1, v[2:3]
.LBB17_44:
	s_or_b64 exec, exec, s[0:1]
	v_cmp_gt_u32_e32 vcc, 2, v0
	s_waitcnt lgkmcnt(0)
	s_barrier
	s_and_saveexec_b64 s[0:1], vcc
	s_cbranch_execz .LBB17_46
; %bb.45:
	ds_read2_b64 v[2:5], v1 offset1:2
	s_waitcnt lgkmcnt(0)
	v_add_co_u32_e32 v2, vcc, v2, v4
	v_addc_co_u32_e32 v3, vcc, v3, v5, vcc
	ds_write_b64 v1, v[2:3]
.LBB17_46:
	s_or_b64 exec, exec, s[0:1]
	v_cmp_eq_u32_e32 vcc, 0, v0
	s_waitcnt lgkmcnt(0)
	s_barrier
	s_and_saveexec_b64 s[0:1], vcc
	s_cbranch_execz .LBB17_48
; %bb.47:
	v_mov_b32_e32 v1, 0
	ds_read_b128 v[2:5], v1
	s_waitcnt lgkmcnt(0)
	v_add_co_u32_e32 v2, vcc, v2, v4
	v_addc_co_u32_e32 v3, vcc, v3, v5, vcc
	ds_write_b64 v1, v[2:3]
.LBB17_48:
	s_or_b64 exec, exec, s[0:1]
	s_waitcnt lgkmcnt(0)
	s_barrier
	v_cmp_eq_u32_e32 vcc, 0, v0
	s_and_saveexec_b64 s[0:1], vcc
	s_cbranch_execz .LBB17_21
.LBB17_49:
	s_load_dwordx2 s[0:1], s[4:5], 0x20
	v_mov_b32_e32 v2, 0
	ds_read_b64 v[0:1], v2
	s_ashr_i32 s7, s6, 31
	s_lshl_b64 s[2:3], s[6:7], 3
	s_waitcnt lgkmcnt(0)
	s_add_u32 s0, s0, s2
	s_addc_u32 s1, s1, s3
	global_store_dwordx2 v2, v[0:1], s[0:1]
	s_endpgm
	.section	.rodata,"a",@progbits
	.p2align	6, 0x0
	.amdhsa_kernel _ZN9rocsparseL14nnz_kernel_colILi256ElifEEv16rocsparse_order_T1_S2_PKT2_lPT0_
		.amdhsa_group_segment_fixed_size 2048
		.amdhsa_private_segment_fixed_size 0
		.amdhsa_kernarg_size 40
		.amdhsa_user_sgpr_count 6
		.amdhsa_user_sgpr_private_segment_buffer 1
		.amdhsa_user_sgpr_dispatch_ptr 0
		.amdhsa_user_sgpr_queue_ptr 0
		.amdhsa_user_sgpr_kernarg_segment_ptr 1
		.amdhsa_user_sgpr_dispatch_id 0
		.amdhsa_user_sgpr_flat_scratch_init 0
		.amdhsa_user_sgpr_kernarg_preload_length 0
		.amdhsa_user_sgpr_kernarg_preload_offset 0
		.amdhsa_user_sgpr_private_segment_size 0
		.amdhsa_uses_dynamic_stack 0
		.amdhsa_system_sgpr_private_segment_wavefront_offset 0
		.amdhsa_system_sgpr_workgroup_id_x 1
		.amdhsa_system_sgpr_workgroup_id_y 0
		.amdhsa_system_sgpr_workgroup_id_z 0
		.amdhsa_system_sgpr_workgroup_info 0
		.amdhsa_system_vgpr_workitem_id 0
		.amdhsa_next_free_vgpr 20
		.amdhsa_next_free_sgpr 20
		.amdhsa_accum_offset 20
		.amdhsa_reserve_vcc 1
		.amdhsa_reserve_flat_scratch 0
		.amdhsa_float_round_mode_32 0
		.amdhsa_float_round_mode_16_64 0
		.amdhsa_float_denorm_mode_32 3
		.amdhsa_float_denorm_mode_16_64 3
		.amdhsa_dx10_clamp 1
		.amdhsa_ieee_mode 1
		.amdhsa_fp16_overflow 0
		.amdhsa_tg_split 0
		.amdhsa_exception_fp_ieee_invalid_op 0
		.amdhsa_exception_fp_denorm_src 0
		.amdhsa_exception_fp_ieee_div_zero 0
		.amdhsa_exception_fp_ieee_overflow 0
		.amdhsa_exception_fp_ieee_underflow 0
		.amdhsa_exception_fp_ieee_inexact 0
		.amdhsa_exception_int_div_zero 0
	.end_amdhsa_kernel
	.section	.text._ZN9rocsparseL14nnz_kernel_colILi256ElifEEv16rocsparse_order_T1_S2_PKT2_lPT0_,"axG",@progbits,_ZN9rocsparseL14nnz_kernel_colILi256ElifEEv16rocsparse_order_T1_S2_PKT2_lPT0_,comdat
.Lfunc_end17:
	.size	_ZN9rocsparseL14nnz_kernel_colILi256ElifEEv16rocsparse_order_T1_S2_PKT2_lPT0_, .Lfunc_end17-_ZN9rocsparseL14nnz_kernel_colILi256ElifEEv16rocsparse_order_T1_S2_PKT2_lPT0_
                                        ; -- End function
	.section	.AMDGPU.csdata,"",@progbits
; Kernel info:
; codeLenInByte = 1436
; NumSgprs: 24
; NumVgprs: 20
; NumAgprs: 0
; TotalNumVgprs: 20
; ScratchSize: 0
; MemoryBound: 0
; FloatMode: 240
; IeeeMode: 1
; LDSByteSize: 2048 bytes/workgroup (compile time only)
; SGPRBlocks: 2
; VGPRBlocks: 2
; NumSGPRsForWavesPerEU: 24
; NumVGPRsForWavesPerEU: 20
; AccumOffset: 20
; Occupancy: 8
; WaveLimiterHint : 0
; COMPUTE_PGM_RSRC2:SCRATCH_EN: 0
; COMPUTE_PGM_RSRC2:USER_SGPR: 6
; COMPUTE_PGM_RSRC2:TRAP_HANDLER: 0
; COMPUTE_PGM_RSRC2:TGID_X_EN: 1
; COMPUTE_PGM_RSRC2:TGID_Y_EN: 0
; COMPUTE_PGM_RSRC2:TGID_Z_EN: 0
; COMPUTE_PGM_RSRC2:TIDIG_COMP_CNT: 0
; COMPUTE_PGM_RSRC3_GFX90A:ACCUM_OFFSET: 4
; COMPUTE_PGM_RSRC3_GFX90A:TG_SPLIT: 0
	.section	.text._ZN9rocsparseL14nnz_kernel_rowILi64ELi16ElidEEv16rocsparse_order_T2_S2_PKT3_lPT1_,"axG",@progbits,_ZN9rocsparseL14nnz_kernel_rowILi64ELi16ElidEEv16rocsparse_order_T2_S2_PKT3_lPT1_,comdat
	.globl	_ZN9rocsparseL14nnz_kernel_rowILi64ELi16ElidEEv16rocsparse_order_T2_S2_PKT3_lPT1_ ; -- Begin function _ZN9rocsparseL14nnz_kernel_rowILi64ELi16ElidEEv16rocsparse_order_T2_S2_PKT3_lPT1_
	.p2align	8
	.type	_ZN9rocsparseL14nnz_kernel_rowILi64ELi16ElidEEv16rocsparse_order_T2_S2_PKT3_lPT1_,@function
_ZN9rocsparseL14nnz_kernel_rowILi64ELi16ElidEEv16rocsparse_order_T2_S2_PKT3_lPT1_: ; @_ZN9rocsparseL14nnz_kernel_rowILi64ELi16ElidEEv16rocsparse_order_T2_S2_PKT3_lPT1_
; %bb.0:
	s_load_dword s0, s[4:5], 0x34
	s_load_dwordx2 s[10:11], s[4:5], 0x20
	s_load_dwordx8 s[12:19], s[4:5], 0x0
	v_and_b32_e32 v1, 0x3ff, v0
	v_bfe_u32 v0, v0, 10, 10
	s_waitcnt lgkmcnt(0)
	s_and_b32 s0, s0, 0xffff
	v_mad_u32_u24 v33, v0, s0, v1
	s_ashr_i32 s0, s14, 31
	s_lshr_b32 s0, s0, 26
	s_mov_b32 s20, 0
	v_and_b32_e32 v35, 63, v33
	s_lshl_b32 s15, s6, 8
	s_add_i32 s33, s14, s0
	v_lshrrev_b32_e32 v0, 4, v33
	s_mov_b32 s21, s20
	v_or_b32_e32 v18, s15, v35
	s_andn2_b32 s33, s33, 63
	v_and_b32_e32 v16, 0x7ffffc, v0
	s_mov_b32 s22, s20
	s_mov_b32 s23, s20
	;; [unrolled: 1-line block ×6, first 2 shown]
	v_pk_mov_b32 v[0:1], s[20:21], s[20:21] op_sel:[0,1]
	v_cmp_gt_i32_e32 vcc, s33, v16
	v_pk_mov_b32 v[2:3], s[22:23], s[22:23] op_sel:[0,1]
	v_pk_mov_b32 v[4:5], s[24:25], s[24:25] op_sel:[0,1]
	;; [unrolled: 1-line block ×3, first 2 shown]
	v_or_b32_e32 v36, 64, v18
	s_and_saveexec_b64 s[28:29], vcc
	s_cbranch_execz .LBB18_28
; %bb.1:
	v_or_b32_e32 v0, 0x80, v18
	v_cmp_gt_i32_e64 s[4:5], s13, v0
	v_or_b32_e32 v0, 0xc0, v18
	v_cmp_gt_i32_e64 s[6:7], s13, v0
	v_add_u32_e32 v0, s15, v35
	v_ashrrev_i32_e32 v1, 31, v0
	v_mul_lo_u32 v4, s18, v1
	v_mul_lo_u32 v5, s19, v0
	v_mad_u64_u32 v[2:3], s[8:9], s18, v0, 0
	v_add3_u32 v3, v3, v4, v5
	v_lshrrev_b32_e32 v8, 6, v33
	v_lshlrev_b64 v[2:3], 3, v[2:3]
	v_lshlrev_b32_e32 v9, 5, v8
	v_lshlrev_b32_e32 v10, 2, v8
	v_add_co_u32_e32 v20, vcc, v2, v9
	v_or_b32_e32 v5, 3, v10
	v_addc_co_u32_e32 v17, vcc, 0, v3, vcc
	v_mad_u64_u32 v[2:3], s[8:9], s18, v5, 0
	v_mov_b32_e32 v4, v3
	v_mad_u64_u32 v[4:5], s[8:9], s19, v5, v[4:5]
	v_mov_b32_e32 v3, v4
	v_lshlrev_b64 v[2:3], 3, v[2:3]
	v_lshlrev_b64 v[4:5], 3, v[0:1]
	v_add_u32_e32 v1, 64, v0
	v_add_co_u32_e32 v22, vcc, v2, v4
	v_ashrrev_i32_e32 v2, 31, v1
	v_addc_co_u32_e32 v19, vcc, v3, v5, vcc
	v_mul_lo_u32 v6, s18, v2
	v_mul_lo_u32 v7, s19, v1
	v_mad_u64_u32 v[2:3], s[8:9], s18, v1, 0
	v_add3_u32 v3, v3, v6, v7
	v_lshlrev_b64 v[2:3], 3, v[2:3]
	v_add_co_u32_e32 v24, vcc, v2, v9
	v_or_b32_e32 v1, 2, v10
	v_addc_co_u32_e32 v21, vcc, 0, v3, vcc
	v_mad_u64_u32 v[2:3], s[8:9], s18, v1, 0
	v_mov_b32_e32 v6, v3
	v_mad_u64_u32 v[6:7], s[8:9], s19, v1, v[6:7]
	v_mov_b32_e32 v3, v6
	v_lshlrev_b64 v[2:3], 3, v[2:3]
	v_add_u32_e32 v1, 0x80, v0
	v_add_co_u32_e32 v26, vcc, v2, v4
	v_ashrrev_i32_e32 v2, 31, v1
	v_addc_co_u32_e32 v23, vcc, v3, v5, vcc
	v_mul_lo_u32 v6, s18, v2
	v_mul_lo_u32 v7, s19, v1
	v_mad_u64_u32 v[2:3], s[8:9], s18, v1, 0
	v_add3_u32 v3, v3, v6, v7
	v_lshlrev_b64 v[2:3], 3, v[2:3]
	v_add_co_u32_e32 v28, vcc, v2, v9
	v_addc_co_u32_e32 v25, vcc, 0, v3, vcc
	v_pk_mov_b32 v[2:3], s[18:19], s[18:19] op_sel:[0,1]
	v_mad_u64_u32 v[2:3], s[8:9], s18, v10, v[2:3]
	v_mov_b32_e32 v6, v3
	v_mad_u64_u32 v[6:7], s[8:9], s19, v10, v[6:7]
	v_mov_b32_e32 v3, v6
	v_lshlrev_b64 v[2:3], 3, v[2:3]
	v_add_u32_e32 v0, 0xc0, v0
	v_add_co_u32_e32 v30, vcc, v2, v4
	v_ashrrev_i32_e32 v1, 31, v0
	v_addc_co_u32_e32 v27, vcc, v3, v5, vcc
	v_mul_lo_u32 v2, s18, v1
	v_mul_lo_u32 v3, s19, v0
	v_mad_u64_u32 v[0:1], s[8:9], s18, v0, 0
	v_add3_u32 v1, v1, v2, v3
	v_lshlrev_b64 v[0:1], 3, v[0:1]
	v_add_co_u32_e32 v32, vcc, v0, v9
	v_addc_co_u32_e32 v29, vcc, 0, v1, vcc
	v_mad_u64_u32 v[0:1], s[8:9], s18, v8, 0
	v_mov_b32_e32 v2, v1
	v_mad_u64_u32 v[2:3], s[8:9], s19, v8, v[2:3]
	v_mov_b32_e32 v1, v2
	v_lshlrev_b64 v[0:1], 5, v[0:1]
	v_add_co_u32_e32 v34, vcc, v0, v4
	s_cmp_lg_u32 s12, 1
	v_addc_co_u32_e32 v31, vcc, v1, v5, vcc
	v_pk_mov_b32 v[0:1], s[20:21], s[20:21] op_sel:[0,1]
	s_cselect_b64 s[30:31], -1, 0
	v_cmp_gt_i32_e64 s[0:1], s13, v18
	v_cmp_gt_i32_e64 s[2:3], s13, v36
	s_lshl_b64 s[34:35], s[18:19], 9
	s_mov_b64 s[36:37], 0
	v_pk_mov_b32 v[2:3], s[22:23], s[22:23] op_sel:[0,1]
	v_pk_mov_b32 v[4:5], s[24:25], s[24:25] op_sel:[0,1]
	;; [unrolled: 1-line block ×3, first 2 shown]
	s_branch .LBB18_4
.LBB18_2:                               ;   in Loop: Header=BB18_4 Depth=1
	v_pk_mov_b32 v[0:1], v[8:9], v[8:9] op_sel:[0,1]
	v_pk_mov_b32 v[2:3], v[10:11], v[10:11] op_sel:[0,1]
	;; [unrolled: 1-line block ×4, first 2 shown]
.LBB18_3:                               ;   in Loop: Header=BB18_4 Depth=1
	s_or_b64 exec, exec, s[20:21]
	v_add_co_u32_e32 v20, vcc, 0x200, v20
	v_addc_co_u32_e32 v17, vcc, 0, v17, vcc
	v_mov_b32_e32 v8, s35
	v_add_co_u32_e32 v22, vcc, s34, v22
	v_addc_co_u32_e32 v19, vcc, v19, v8, vcc
	v_add_co_u32_e32 v24, vcc, 0x200, v24
	v_addc_co_u32_e32 v21, vcc, 0, v21, vcc
	;; [unrolled: 2-line block ×5, first 2 shown]
	v_add_co_u32_e32 v32, vcc, 0x200, v32
	v_add_u32_e32 v16, 64, v16
	v_addc_co_u32_e32 v29, vcc, 0, v29, vcc
	v_cmp_le_i32_e32 vcc, s33, v16
	s_or_b64 s[36:37], vcc, s[36:37]
	v_add_co_u32_e32 v34, vcc, s34, v34
	v_addc_co_u32_e32 v31, vcc, v31, v8, vcc
	s_andn2_b64 exec, exec, s[36:37]
	s_cbranch_execz .LBB18_27
.LBB18_4:                               ; =>This Inner Loop Header: Depth=1
	v_cndmask_b32_e64 v8, 0, 1, s[30:31]
	v_cmp_ne_u32_e64 s[8:9], 1, v8
	s_and_saveexec_b64 s[20:21], s[0:1]
	s_cbranch_execnz .LBB18_8
; %bb.5:                                ;   in Loop: Header=BB18_4 Depth=1
	s_or_b64 exec, exec, s[20:21]
	s_and_saveexec_b64 s[20:21], s[2:3]
	s_cbranch_execnz .LBB18_13
.LBB18_6:                               ;   in Loop: Header=BB18_4 Depth=1
	s_or_b64 exec, exec, s[20:21]
	s_and_saveexec_b64 s[20:21], s[4:5]
	s_cbranch_execnz .LBB18_18
.LBB18_7:                               ;   in Loop: Header=BB18_4 Depth=1
	s_or_b64 exec, exec, s[20:21]
	s_and_saveexec_b64 s[20:21], s[6:7]
	s_cbranch_execz .LBB18_3
	s_branch .LBB18_23
.LBB18_8:                               ;   in Loop: Header=BB18_4 Depth=1
	s_and_b64 vcc, exec, s[8:9]
	s_cbranch_vccnz .LBB18_10
; %bb.9:                                ;   in Loop: Header=BB18_4 Depth=1
	v_mov_b32_e32 v9, s17
	v_add_co_u32_e32 v8, vcc, s16, v20
	v_addc_co_u32_e32 v9, vcc, v9, v17, vcc
	global_load_dwordx4 v[38:41], v[8:9], off
	global_load_dwordx4 v[42:45], v[8:9], off offset:16
	v_add_co_u32_e32 v8, vcc, 1, v0
	v_addc_co_u32_e32 v9, vcc, 0, v1, vcc
	v_mov_b32_e32 v10, v2
	v_mov_b32_e32 v11, v3
	;; [unrolled: 1-line block ×6, first 2 shown]
	s_waitcnt vmcnt(1)
	v_cmp_neq_f64_e32 vcc, 0, v[38:39]
	v_cndmask_b32_e32 v8, v0, v8, vcc
	v_cndmask_b32_e32 v9, v1, v9, vcc
	v_add_co_u32_e32 v37, vcc, 1, v8
	v_addc_co_u32_e32 v38, vcc, 0, v9, vcc
	v_cmp_neq_f64_e32 vcc, 0, v[40:41]
	v_cndmask_b32_e32 v8, v8, v37, vcc
	v_cndmask_b32_e32 v9, v9, v38, vcc
	v_add_co_u32_e32 v37, vcc, 1, v8
	v_addc_co_u32_e32 v38, vcc, 0, v9, vcc
	s_waitcnt vmcnt(0)
	v_cmp_neq_f64_e32 vcc, 0, v[42:43]
	v_cndmask_b32_e32 v8, v8, v37, vcc
	v_cndmask_b32_e32 v9, v9, v38, vcc
	v_add_co_u32_e32 v37, vcc, 1, v8
	v_addc_co_u32_e32 v38, vcc, 0, v9, vcc
	v_cmp_neq_f64_e32 vcc, 0, v[44:45]
	v_cndmask_b32_e32 v9, v9, v38, vcc
	v_cndmask_b32_e32 v8, v8, v37, vcc
	s_cbranch_execz .LBB18_11
	s_branch .LBB18_12
.LBB18_10:                              ;   in Loop: Header=BB18_4 Depth=1
                                        ; implicit-def: $vgpr8_vgpr9_vgpr10_vgpr11_vgpr12_vgpr13_vgpr14_vgpr15
.LBB18_11:                              ;   in Loop: Header=BB18_4 Depth=1
	v_mov_b32_e32 v15, s17
	v_add_co_u32_e32 v8, vcc, s16, v34
	v_addc_co_u32_e32 v9, vcc, v15, v31, vcc
	global_load_dwordx2 v[8:9], v[8:9], off
	v_add_co_u32_e32 v10, vcc, s16, v30
	v_addc_co_u32_e32 v11, vcc, v15, v27, vcc
	global_load_dwordx2 v[10:11], v[10:11], off
	;; [unrolled: 3-line block ×4, first 2 shown]
	v_add_co_u32_e32 v37, vcc, 1, v0
	v_addc_co_u32_e32 v38, vcc, 0, v1, vcc
	s_waitcnt vmcnt(3)
	v_cmp_neq_f64_e32 vcc, 0, v[8:9]
	v_cndmask_b32_e32 v0, v0, v37, vcc
	v_cndmask_b32_e32 v1, v1, v38, vcc
	v_add_co_u32_e32 v8, vcc, 1, v0
	v_addc_co_u32_e32 v9, vcc, 0, v1, vcc
	s_waitcnt vmcnt(2)
	v_cmp_neq_f64_e32 vcc, 0, v[10:11]
	v_cndmask_b32_e32 v0, v0, v8, vcc
	v_cndmask_b32_e32 v1, v1, v9, vcc
	;; [unrolled: 6-line block ×4, first 2 shown]
	v_pk_mov_b32 v[14:15], v[6:7], v[6:7] op_sel:[0,1]
	v_pk_mov_b32 v[12:13], v[4:5], v[4:5] op_sel:[0,1]
	;; [unrolled: 1-line block ×4, first 2 shown]
.LBB18_12:                              ;   in Loop: Header=BB18_4 Depth=1
	v_pk_mov_b32 v[0:1], v[8:9], v[8:9] op_sel:[0,1]
	v_pk_mov_b32 v[2:3], v[10:11], v[10:11] op_sel:[0,1]
	;; [unrolled: 1-line block ×4, first 2 shown]
	s_or_b64 exec, exec, s[20:21]
	s_and_saveexec_b64 s[20:21], s[2:3]
	s_cbranch_execz .LBB18_6
.LBB18_13:                              ;   in Loop: Header=BB18_4 Depth=1
	s_and_b64 vcc, exec, s[8:9]
	s_cbranch_vccnz .LBB18_15
; %bb.14:                               ;   in Loop: Header=BB18_4 Depth=1
	v_mov_b32_e32 v9, s17
	v_add_co_u32_e32 v8, vcc, s16, v24
	v_addc_co_u32_e32 v9, vcc, v9, v21, vcc
	global_load_dwordx4 v[38:41], v[8:9], off
	global_load_dwordx4 v[42:45], v[8:9], off offset:16
	v_add_co_u32_e32 v10, vcc, 1, v2
	v_addc_co_u32_e32 v11, vcc, 0, v3, vcc
	v_mov_b32_e32 v8, v0
	v_mov_b32_e32 v9, v1
	;; [unrolled: 1-line block ×6, first 2 shown]
	s_waitcnt vmcnt(1)
	v_cmp_neq_f64_e32 vcc, 0, v[38:39]
	v_cndmask_b32_e32 v10, v2, v10, vcc
	v_cndmask_b32_e32 v11, v3, v11, vcc
	v_add_co_u32_e32 v37, vcc, 1, v10
	v_addc_co_u32_e32 v38, vcc, 0, v11, vcc
	v_cmp_neq_f64_e32 vcc, 0, v[40:41]
	v_cndmask_b32_e32 v10, v10, v37, vcc
	v_cndmask_b32_e32 v11, v11, v38, vcc
	v_add_co_u32_e32 v37, vcc, 1, v10
	v_addc_co_u32_e32 v38, vcc, 0, v11, vcc
	s_waitcnt vmcnt(0)
	v_cmp_neq_f64_e32 vcc, 0, v[42:43]
	v_cndmask_b32_e32 v10, v10, v37, vcc
	v_cndmask_b32_e32 v11, v11, v38, vcc
	v_add_co_u32_e32 v37, vcc, 1, v10
	v_addc_co_u32_e32 v38, vcc, 0, v11, vcc
	v_cmp_neq_f64_e32 vcc, 0, v[44:45]
	v_cndmask_b32_e32 v11, v11, v38, vcc
	v_cndmask_b32_e32 v10, v10, v37, vcc
	s_cbranch_execz .LBB18_16
	s_branch .LBB18_17
.LBB18_15:                              ;   in Loop: Header=BB18_4 Depth=1
                                        ; implicit-def: $vgpr8_vgpr9_vgpr10_vgpr11_vgpr12_vgpr13_vgpr14_vgpr15
.LBB18_16:                              ;   in Loop: Header=BB18_4 Depth=1
	v_mov_b32_e32 v15, s17
	v_add_co_u32_e32 v8, vcc, s16, v34
	v_addc_co_u32_e32 v9, vcc, v15, v31, vcc
	global_load_dwordx2 v[8:9], v[8:9], off offset:512
	v_add_co_u32_e32 v10, vcc, s16, v30
	v_addc_co_u32_e32 v11, vcc, v15, v27, vcc
	global_load_dwordx2 v[10:11], v[10:11], off offset:512
	;; [unrolled: 3-line block ×4, first 2 shown]
	v_add_co_u32_e32 v37, vcc, 1, v2
	v_addc_co_u32_e32 v38, vcc, 0, v3, vcc
	s_waitcnt vmcnt(3)
	v_cmp_neq_f64_e32 vcc, 0, v[8:9]
	v_cndmask_b32_e32 v2, v2, v37, vcc
	v_cndmask_b32_e32 v3, v3, v38, vcc
	v_add_co_u32_e32 v8, vcc, 1, v2
	v_addc_co_u32_e32 v9, vcc, 0, v3, vcc
	s_waitcnt vmcnt(2)
	v_cmp_neq_f64_e32 vcc, 0, v[10:11]
	v_cndmask_b32_e32 v2, v2, v8, vcc
	v_cndmask_b32_e32 v3, v3, v9, vcc
	;; [unrolled: 6-line block ×4, first 2 shown]
	v_pk_mov_b32 v[14:15], v[6:7], v[6:7] op_sel:[0,1]
	v_pk_mov_b32 v[12:13], v[4:5], v[4:5] op_sel:[0,1]
	;; [unrolled: 1-line block ×4, first 2 shown]
.LBB18_17:                              ;   in Loop: Header=BB18_4 Depth=1
	v_pk_mov_b32 v[0:1], v[8:9], v[8:9] op_sel:[0,1]
	v_pk_mov_b32 v[2:3], v[10:11], v[10:11] op_sel:[0,1]
	;; [unrolled: 1-line block ×4, first 2 shown]
	s_or_b64 exec, exec, s[20:21]
	s_and_saveexec_b64 s[20:21], s[4:5]
	s_cbranch_execz .LBB18_7
.LBB18_18:                              ;   in Loop: Header=BB18_4 Depth=1
	s_and_b64 vcc, exec, s[8:9]
	s_cbranch_vccnz .LBB18_20
; %bb.19:                               ;   in Loop: Header=BB18_4 Depth=1
	v_mov_b32_e32 v9, s17
	v_add_co_u32_e32 v8, vcc, s16, v28
	v_addc_co_u32_e32 v9, vcc, v9, v25, vcc
	global_load_dwordx4 v[38:41], v[8:9], off
	global_load_dwordx4 v[42:45], v[8:9], off offset:16
	v_add_co_u32_e32 v12, vcc, 1, v4
	v_addc_co_u32_e32 v13, vcc, 0, v5, vcc
	v_mov_b32_e32 v8, v0
	v_mov_b32_e32 v9, v1
	;; [unrolled: 1-line block ×6, first 2 shown]
	s_waitcnt vmcnt(1)
	v_cmp_neq_f64_e32 vcc, 0, v[38:39]
	v_cndmask_b32_e32 v12, v4, v12, vcc
	v_cndmask_b32_e32 v13, v5, v13, vcc
	v_add_co_u32_e32 v37, vcc, 1, v12
	v_addc_co_u32_e32 v38, vcc, 0, v13, vcc
	v_cmp_neq_f64_e32 vcc, 0, v[40:41]
	v_cndmask_b32_e32 v12, v12, v37, vcc
	v_cndmask_b32_e32 v13, v13, v38, vcc
	v_add_co_u32_e32 v37, vcc, 1, v12
	v_addc_co_u32_e32 v38, vcc, 0, v13, vcc
	s_waitcnt vmcnt(0)
	v_cmp_neq_f64_e32 vcc, 0, v[42:43]
	v_cndmask_b32_e32 v12, v12, v37, vcc
	v_cndmask_b32_e32 v13, v13, v38, vcc
	v_add_co_u32_e32 v37, vcc, 1, v12
	v_addc_co_u32_e32 v38, vcc, 0, v13, vcc
	v_cmp_neq_f64_e32 vcc, 0, v[44:45]
	v_cndmask_b32_e32 v13, v13, v38, vcc
	v_cndmask_b32_e32 v12, v12, v37, vcc
	s_cbranch_execz .LBB18_21
	s_branch .LBB18_22
.LBB18_20:                              ;   in Loop: Header=BB18_4 Depth=1
                                        ; implicit-def: $vgpr8_vgpr9_vgpr10_vgpr11_vgpr12_vgpr13_vgpr14_vgpr15
.LBB18_21:                              ;   in Loop: Header=BB18_4 Depth=1
	v_mov_b32_e32 v15, s17
	v_add_co_u32_e32 v8, vcc, s16, v34
	v_addc_co_u32_e32 v9, vcc, v15, v31, vcc
	global_load_dwordx2 v[8:9], v[8:9], off offset:1024
	v_add_co_u32_e32 v10, vcc, s16, v30
	v_addc_co_u32_e32 v11, vcc, v15, v27, vcc
	global_load_dwordx2 v[10:11], v[10:11], off offset:1024
	;; [unrolled: 3-line block ×4, first 2 shown]
	v_add_co_u32_e32 v37, vcc, 1, v4
	v_addc_co_u32_e32 v38, vcc, 0, v5, vcc
	s_waitcnt vmcnt(3)
	v_cmp_neq_f64_e32 vcc, 0, v[8:9]
	v_cndmask_b32_e32 v4, v4, v37, vcc
	v_cndmask_b32_e32 v5, v5, v38, vcc
	v_add_co_u32_e32 v8, vcc, 1, v4
	v_addc_co_u32_e32 v9, vcc, 0, v5, vcc
	s_waitcnt vmcnt(2)
	v_cmp_neq_f64_e32 vcc, 0, v[10:11]
	v_cndmask_b32_e32 v4, v4, v8, vcc
	v_cndmask_b32_e32 v5, v5, v9, vcc
	v_add_co_u32_e32 v8, vcc, 1, v4
	v_addc_co_u32_e32 v9, vcc, 0, v5, vcc
	s_waitcnt vmcnt(1)
	v_cmp_neq_f64_e32 vcc, 0, v[12:13]
	v_cndmask_b32_e32 v4, v4, v8, vcc
	v_cndmask_b32_e32 v5, v5, v9, vcc
	v_add_co_u32_e32 v8, vcc, 1, v4
	v_addc_co_u32_e32 v9, vcc, 0, v5, vcc
	s_waitcnt vmcnt(0)
	v_cmp_neq_f64_e32 vcc, 0, v[14:15]
	v_cndmask_b32_e32 v5, v5, v9, vcc
	v_cndmask_b32_e32 v4, v4, v8, vcc
	v_pk_mov_b32 v[14:15], v[6:7], v[6:7] op_sel:[0,1]
	v_pk_mov_b32 v[12:13], v[4:5], v[4:5] op_sel:[0,1]
	;; [unrolled: 1-line block ×4, first 2 shown]
.LBB18_22:                              ;   in Loop: Header=BB18_4 Depth=1
	v_pk_mov_b32 v[0:1], v[8:9], v[8:9] op_sel:[0,1]
	v_pk_mov_b32 v[2:3], v[10:11], v[10:11] op_sel:[0,1]
	;; [unrolled: 1-line block ×4, first 2 shown]
	s_or_b64 exec, exec, s[20:21]
	s_and_saveexec_b64 s[20:21], s[6:7]
	s_cbranch_execz .LBB18_3
.LBB18_23:                              ;   in Loop: Header=BB18_4 Depth=1
	s_and_b64 vcc, exec, s[8:9]
	s_cbranch_vccnz .LBB18_25
; %bb.24:                               ;   in Loop: Header=BB18_4 Depth=1
	v_mov_b32_e32 v9, s17
	v_add_co_u32_e32 v8, vcc, s16, v32
	v_addc_co_u32_e32 v9, vcc, v9, v29, vcc
	global_load_dwordx4 v[38:41], v[8:9], off
	global_load_dwordx4 v[42:45], v[8:9], off offset:16
	v_add_co_u32_e32 v14, vcc, 1, v6
	v_addc_co_u32_e32 v15, vcc, 0, v7, vcc
	v_mov_b32_e32 v8, v0
	v_mov_b32_e32 v9, v1
	;; [unrolled: 1-line block ×6, first 2 shown]
	s_waitcnt vmcnt(1)
	v_cmp_neq_f64_e32 vcc, 0, v[38:39]
	v_cndmask_b32_e32 v14, v6, v14, vcc
	v_cndmask_b32_e32 v15, v7, v15, vcc
	v_add_co_u32_e32 v37, vcc, 1, v14
	v_addc_co_u32_e32 v38, vcc, 0, v15, vcc
	v_cmp_neq_f64_e32 vcc, 0, v[40:41]
	v_cndmask_b32_e32 v14, v14, v37, vcc
	v_cndmask_b32_e32 v15, v15, v38, vcc
	v_add_co_u32_e32 v37, vcc, 1, v14
	v_addc_co_u32_e32 v38, vcc, 0, v15, vcc
	s_waitcnt vmcnt(0)
	v_cmp_neq_f64_e32 vcc, 0, v[42:43]
	v_cndmask_b32_e32 v14, v14, v37, vcc
	v_cndmask_b32_e32 v15, v15, v38, vcc
	v_add_co_u32_e32 v37, vcc, 1, v14
	v_addc_co_u32_e32 v38, vcc, 0, v15, vcc
	v_cmp_neq_f64_e32 vcc, 0, v[44:45]
	v_cndmask_b32_e32 v15, v15, v38, vcc
	v_cndmask_b32_e32 v14, v14, v37, vcc
	s_cbranch_execnz .LBB18_2
	s_branch .LBB18_26
.LBB18_25:                              ;   in Loop: Header=BB18_4 Depth=1
                                        ; implicit-def: $vgpr8_vgpr9_vgpr10_vgpr11_vgpr12_vgpr13_vgpr14_vgpr15
.LBB18_26:                              ;   in Loop: Header=BB18_4 Depth=1
	v_mov_b32_e32 v15, s17
	v_add_co_u32_e32 v8, vcc, s16, v34
	v_addc_co_u32_e32 v9, vcc, v15, v31, vcc
	global_load_dwordx2 v[8:9], v[8:9], off offset:1536
	v_add_co_u32_e32 v10, vcc, s16, v30
	v_addc_co_u32_e32 v11, vcc, v15, v27, vcc
	global_load_dwordx2 v[10:11], v[10:11], off offset:1536
	v_add_co_u32_e32 v12, vcc, s16, v26
	v_addc_co_u32_e32 v13, vcc, v15, v23, vcc
	global_load_dwordx2 v[12:13], v[12:13], off offset:1536
	v_add_co_u32_e32 v14, vcc, s16, v22
	v_addc_co_u32_e32 v15, vcc, v15, v19, vcc
	global_load_dwordx2 v[14:15], v[14:15], off offset:1536
	v_add_co_u32_e32 v37, vcc, 1, v6
	v_addc_co_u32_e32 v38, vcc, 0, v7, vcc
	s_waitcnt vmcnt(3)
	v_cmp_neq_f64_e32 vcc, 0, v[8:9]
	v_cndmask_b32_e32 v6, v6, v37, vcc
	v_cndmask_b32_e32 v7, v7, v38, vcc
	v_add_co_u32_e32 v8, vcc, 1, v6
	v_addc_co_u32_e32 v9, vcc, 0, v7, vcc
	s_waitcnt vmcnt(2)
	v_cmp_neq_f64_e32 vcc, 0, v[10:11]
	v_cndmask_b32_e32 v6, v6, v8, vcc
	v_cndmask_b32_e32 v7, v7, v9, vcc
	;; [unrolled: 6-line block ×4, first 2 shown]
	v_pk_mov_b32 v[14:15], v[6:7], v[6:7] op_sel:[0,1]
	v_pk_mov_b32 v[12:13], v[4:5], v[4:5] op_sel:[0,1]
	;; [unrolled: 1-line block ×4, first 2 shown]
	s_branch .LBB18_2
.LBB18_27:
	s_or_b64 exec, exec, s[36:37]
.LBB18_28:
	s_or_b64 exec, exec, s[28:29]
	s_sub_i32 s0, s14, s33
	s_cmp_lt_i32 s0, 1
	s_cbranch_scc1 .LBB18_126
; %bb.29:
	v_mov_b32_e32 v17, 0
	v_lshlrev_b64 v[8:9], 3, v[16:17]
	s_cmp_eq_u32 s12, 1
	v_mov_b32_e32 v10, s17
	v_add_co_u32_e32 v12, vcc, s16, v8
	s_cselect_b64 s[2:3], -1, 0
	s_cmp_lg_u32 s12, 1
	v_addc_co_u32_e32 v13, vcc, v10, v9, vcc
	s_cselect_b64 s[0:1], -1, 0
	v_cmp_gt_i32_e32 vcc, s13, v18
	v_ashrrev_i32_e32 v19, 31, v18
	s_and_saveexec_b64 s[4:5], vcc
	s_cbranch_execz .LBB18_53
; %bb.30:
	v_mul_lo_u32 v10, v18, s19
	v_mul_lo_u32 v11, v19, s18
	v_mad_u64_u32 v[8:9], s[6:7], v18, s18, 0
	v_add3_u32 v9, v9, v10, v11
	v_lshlrev_b64 v[8:9], 3, v[8:9]
	v_add_co_u32_e32 v8, vcc, v12, v8
	v_addc_co_u32_e32 v9, vcc, v13, v9, vcc
	v_lshlrev_b64 v[10:11], 3, v[18:19]
	v_mov_b32_e32 v15, s17
	v_add_co_u32_e32 v14, vcc, s16, v10
	v_addc_co_u32_e32 v15, vcc, v15, v11, vcc
	v_cmp_gt_i32_e32 vcc, s14, v16
	s_and_saveexec_b64 s[6:7], vcc
	s_cbranch_execz .LBB18_34
; %bb.31:
	s_andn2_b64 vcc, exec, s[2:3]
	v_pk_mov_b32 v[10:11], v[8:9], v[8:9] op_sel:[0,1]
	s_cbranch_vccnz .LBB18_33
; %bb.32:
	v_mad_u64_u32 v[10:11], s[8:9], v16, s18, 0
	v_mov_b32_e32 v20, v11
	v_mad_u64_u32 v[20:21], s[8:9], v16, s19, v[20:21]
	v_mov_b32_e32 v11, v20
	v_lshlrev_b64 v[10:11], 3, v[10:11]
	v_add_co_u32_e32 v10, vcc, v14, v10
	v_addc_co_u32_e32 v11, vcc, v15, v11, vcc
.LBB18_33:
	global_load_dwordx2 v[10:11], v[10:11], off
	s_waitcnt vmcnt(0)
	v_cmp_neq_f64_e32 vcc, 0, v[10:11]
	v_cndmask_b32_e64 v10, 0, 1, vcc
	v_add_co_u32_e32 v0, vcc, v0, v10
	v_addc_co_u32_e32 v1, vcc, 0, v1, vcc
.LBB18_34:
	s_or_b64 exec, exec, s[6:7]
	v_or_b32_e32 v17, 1, v16
	v_cmp_gt_i32_e32 vcc, s14, v17
	s_and_saveexec_b64 s[6:7], vcc
	s_cbranch_execz .LBB18_40
; %bb.35:
	s_andn2_b64 vcc, exec, s[0:1]
	s_cbranch_vccnz .LBB18_37
; %bb.36:
	v_add_co_u32_e32 v10, vcc, 8, v8
	v_addc_co_u32_e32 v11, vcc, 0, v9, vcc
	s_cbranch_execz .LBB18_38
	s_branch .LBB18_39
.LBB18_37:
                                        ; implicit-def: $vgpr10_vgpr11
.LBB18_38:
	v_mad_u64_u32 v[10:11], s[8:9], v17, s18, 0
	v_mov_b32_e32 v20, v11
	v_mad_u64_u32 v[20:21], s[8:9], v17, s19, v[20:21]
	v_mov_b32_e32 v11, v20
	v_lshlrev_b64 v[10:11], 3, v[10:11]
	v_add_co_u32_e32 v10, vcc, v14, v10
	v_addc_co_u32_e32 v11, vcc, v15, v11, vcc
.LBB18_39:
	global_load_dwordx2 v[10:11], v[10:11], off
	s_waitcnt vmcnt(0)
	v_cmp_neq_f64_e32 vcc, 0, v[10:11]
	v_cndmask_b32_e64 v10, 0, 1, vcc
	v_add_co_u32_e32 v0, vcc, v0, v10
	v_addc_co_u32_e32 v1, vcc, 0, v1, vcc
.LBB18_40:
	s_or_b64 exec, exec, s[6:7]
	v_or_b32_e32 v17, 2, v16
	v_cmp_gt_i32_e32 vcc, s14, v17
	s_and_saveexec_b64 s[6:7], vcc
	s_cbranch_execz .LBB18_46
; %bb.41:
	s_andn2_b64 vcc, exec, s[0:1]
	s_cbranch_vccnz .LBB18_43
; %bb.42:
	v_add_co_u32_e32 v10, vcc, 16, v8
	v_addc_co_u32_e32 v11, vcc, 0, v9, vcc
	s_cbranch_execz .LBB18_44
	s_branch .LBB18_45
.LBB18_43:
                                        ; implicit-def: $vgpr10_vgpr11
.LBB18_44:
	v_mad_u64_u32 v[10:11], s[8:9], v17, s18, 0
	v_mov_b32_e32 v20, v11
	v_mad_u64_u32 v[20:21], s[8:9], v17, s19, v[20:21]
	v_mov_b32_e32 v11, v20
	v_lshlrev_b64 v[10:11], 3, v[10:11]
	v_add_co_u32_e32 v10, vcc, v14, v10
	v_addc_co_u32_e32 v11, vcc, v15, v11, vcc
.LBB18_45:
	global_load_dwordx2 v[10:11], v[10:11], off
	s_waitcnt vmcnt(0)
	v_cmp_neq_f64_e32 vcc, 0, v[10:11]
	v_cndmask_b32_e64 v10, 0, 1, vcc
	v_add_co_u32_e32 v0, vcc, v0, v10
	v_addc_co_u32_e32 v1, vcc, 0, v1, vcc
.LBB18_46:
	s_or_b64 exec, exec, s[6:7]
	v_or_b32_e32 v10, 3, v16
	v_cmp_gt_i32_e32 vcc, s14, v10
	s_and_saveexec_b64 s[6:7], vcc
	s_cbranch_execz .LBB18_52
; %bb.47:
	s_andn2_b64 vcc, exec, s[0:1]
	s_cbranch_vccnz .LBB18_49
; %bb.48:
	v_add_co_u32_e32 v8, vcc, 24, v8
	v_addc_co_u32_e32 v9, vcc, 0, v9, vcc
	s_cbranch_execz .LBB18_50
	s_branch .LBB18_51
.LBB18_49:
                                        ; implicit-def: $vgpr8_vgpr9
.LBB18_50:
	v_mad_u64_u32 v[8:9], s[8:9], v10, s18, 0
	v_mov_b32_e32 v20, v9
	v_mad_u64_u32 v[10:11], s[8:9], v10, s19, v[20:21]
	v_mov_b32_e32 v9, v10
	v_lshlrev_b64 v[8:9], 3, v[8:9]
	v_add_co_u32_e32 v8, vcc, v14, v8
	v_addc_co_u32_e32 v9, vcc, v15, v9, vcc
.LBB18_51:
	global_load_dwordx2 v[8:9], v[8:9], off
	s_waitcnt vmcnt(0)
	v_cmp_neq_f64_e32 vcc, 0, v[8:9]
	v_cndmask_b32_e64 v8, 0, 1, vcc
	v_add_co_u32_e32 v0, vcc, v0, v8
	v_addc_co_u32_e32 v1, vcc, 0, v1, vcc
.LBB18_52:
	s_or_b64 exec, exec, s[6:7]
.LBB18_53:
	s_or_b64 exec, exec, s[4:5]
	v_cmp_gt_i32_e32 vcc, s13, v36
	s_and_saveexec_b64 s[4:5], vcc
	s_cbranch_execz .LBB18_77
; %bb.54:
	v_ashrrev_i32_e32 v8, 31, v36
	v_mul_lo_u32 v10, v36, s19
	v_mul_lo_u32 v11, v8, s18
	v_mad_u64_u32 v[8:9], s[6:7], v36, s18, 0
	v_add3_u32 v9, v9, v10, v11
	v_lshlrev_b64 v[8:9], 3, v[8:9]
	v_add_co_u32_e32 v8, vcc, v12, v8
	v_addc_co_u32_e32 v9, vcc, v13, v9, vcc
	v_lshlrev_b64 v[10:11], 3, v[18:19]
	v_mov_b32_e32 v15, s17
	v_add_co_u32_e32 v14, vcc, s16, v10
	v_addc_co_u32_e32 v15, vcc, v15, v11, vcc
	v_cmp_gt_i32_e32 vcc, s14, v16
	s_and_saveexec_b64 s[6:7], vcc
	s_cbranch_execz .LBB18_58
; %bb.55:
	s_andn2_b64 vcc, exec, s[2:3]
	v_pk_mov_b32 v[10:11], v[8:9], v[8:9] op_sel:[0,1]
	s_cbranch_vccnz .LBB18_57
; %bb.56:
	v_mad_u64_u32 v[10:11], s[8:9], v16, s18, 0
	v_mov_b32_e32 v20, v11
	v_mad_u64_u32 v[20:21], s[8:9], v16, s19, v[20:21]
	v_mov_b32_e32 v11, v20
	v_lshlrev_b64 v[10:11], 3, v[10:11]
	v_add_co_u32_e32 v10, vcc, v14, v10
	v_addc_co_u32_e32 v11, vcc, v15, v11, vcc
	v_add_co_u32_e32 v10, vcc, 0x200, v10
	v_addc_co_u32_e32 v11, vcc, 0, v11, vcc
.LBB18_57:
	global_load_dwordx2 v[10:11], v[10:11], off
	s_waitcnt vmcnt(0)
	v_cmp_neq_f64_e32 vcc, 0, v[10:11]
	v_cndmask_b32_e64 v10, 0, 1, vcc
	v_add_co_u32_e32 v2, vcc, v2, v10
	v_addc_co_u32_e32 v3, vcc, 0, v3, vcc
.LBB18_58:
	s_or_b64 exec, exec, s[6:7]
	v_or_b32_e32 v17, 1, v16
	v_cmp_gt_i32_e32 vcc, s14, v17
	s_and_saveexec_b64 s[6:7], vcc
	s_cbranch_execz .LBB18_64
; %bb.59:
	s_andn2_b64 vcc, exec, s[0:1]
	s_cbranch_vccnz .LBB18_61
; %bb.60:
	v_add_co_u32_e32 v10, vcc, 8, v8
	v_addc_co_u32_e32 v11, vcc, 0, v9, vcc
	s_cbranch_execz .LBB18_62
	s_branch .LBB18_63
.LBB18_61:
                                        ; implicit-def: $vgpr10_vgpr11
.LBB18_62:
	v_mad_u64_u32 v[10:11], s[8:9], v17, s18, 0
	v_mov_b32_e32 v20, v11
	v_mad_u64_u32 v[20:21], s[8:9], v17, s19, v[20:21]
	v_mov_b32_e32 v11, v20
	v_lshlrev_b64 v[10:11], 3, v[10:11]
	v_add_co_u32_e32 v10, vcc, v14, v10
	v_addc_co_u32_e32 v11, vcc, v15, v11, vcc
	v_add_co_u32_e32 v10, vcc, 0x200, v10
	v_addc_co_u32_e32 v11, vcc, 0, v11, vcc
.LBB18_63:
	global_load_dwordx2 v[10:11], v[10:11], off
	s_waitcnt vmcnt(0)
	v_cmp_neq_f64_e32 vcc, 0, v[10:11]
	v_cndmask_b32_e64 v10, 0, 1, vcc
	v_add_co_u32_e32 v2, vcc, v2, v10
	v_addc_co_u32_e32 v3, vcc, 0, v3, vcc
.LBB18_64:
	s_or_b64 exec, exec, s[6:7]
	v_or_b32_e32 v17, 2, v16
	v_cmp_gt_i32_e32 vcc, s14, v17
	s_and_saveexec_b64 s[6:7], vcc
	s_cbranch_execz .LBB18_70
; %bb.65:
	s_andn2_b64 vcc, exec, s[0:1]
	s_cbranch_vccnz .LBB18_67
; %bb.66:
	v_add_co_u32_e32 v10, vcc, 16, v8
	v_addc_co_u32_e32 v11, vcc, 0, v9, vcc
	s_cbranch_execz .LBB18_68
	s_branch .LBB18_69
.LBB18_67:
                                        ; implicit-def: $vgpr10_vgpr11
.LBB18_68:
	v_mad_u64_u32 v[10:11], s[8:9], v17, s18, 0
	v_mov_b32_e32 v20, v11
	v_mad_u64_u32 v[20:21], s[8:9], v17, s19, v[20:21]
	v_mov_b32_e32 v11, v20
	v_lshlrev_b64 v[10:11], 3, v[10:11]
	v_add_co_u32_e32 v10, vcc, v14, v10
	v_addc_co_u32_e32 v11, vcc, v15, v11, vcc
	v_add_co_u32_e32 v10, vcc, 0x200, v10
	v_addc_co_u32_e32 v11, vcc, 0, v11, vcc
.LBB18_69:
	global_load_dwordx2 v[10:11], v[10:11], off
	s_waitcnt vmcnt(0)
	v_cmp_neq_f64_e32 vcc, 0, v[10:11]
	v_cndmask_b32_e64 v10, 0, 1, vcc
	v_add_co_u32_e32 v2, vcc, v2, v10
	v_addc_co_u32_e32 v3, vcc, 0, v3, vcc
.LBB18_70:
	s_or_b64 exec, exec, s[6:7]
	v_or_b32_e32 v10, 3, v16
	v_cmp_gt_i32_e32 vcc, s14, v10
	s_and_saveexec_b64 s[6:7], vcc
	s_cbranch_execz .LBB18_76
; %bb.71:
	s_andn2_b64 vcc, exec, s[0:1]
	s_cbranch_vccnz .LBB18_73
; %bb.72:
	v_add_co_u32_e32 v8, vcc, 24, v8
	v_addc_co_u32_e32 v9, vcc, 0, v9, vcc
	s_cbranch_execz .LBB18_74
	s_branch .LBB18_75
.LBB18_73:
                                        ; implicit-def: $vgpr8_vgpr9
.LBB18_74:
	v_mad_u64_u32 v[8:9], s[8:9], v10, s18, 0
	v_mov_b32_e32 v20, v9
	v_mad_u64_u32 v[10:11], s[8:9], v10, s19, v[20:21]
	v_mov_b32_e32 v9, v10
	v_lshlrev_b64 v[8:9], 3, v[8:9]
	v_add_co_u32_e32 v8, vcc, v14, v8
	v_addc_co_u32_e32 v9, vcc, v15, v9, vcc
	v_add_co_u32_e32 v8, vcc, 0x200, v8
	v_addc_co_u32_e32 v9, vcc, 0, v9, vcc
.LBB18_75:
	global_load_dwordx2 v[8:9], v[8:9], off
	s_waitcnt vmcnt(0)
	v_cmp_neq_f64_e32 vcc, 0, v[8:9]
	v_cndmask_b32_e64 v8, 0, 1, vcc
	v_add_co_u32_e32 v2, vcc, v2, v8
	v_addc_co_u32_e32 v3, vcc, 0, v3, vcc
.LBB18_76:
	s_or_b64 exec, exec, s[6:7]
.LBB18_77:
	s_or_b64 exec, exec, s[4:5]
	v_or_b32_e32 v8, 0x80, v18
	v_cmp_gt_i32_e32 vcc, s13, v8
	s_and_saveexec_b64 s[4:5], vcc
	s_cbranch_execz .LBB18_101
; %bb.78:
	v_ashrrev_i32_e32 v9, 31, v8
	v_mul_lo_u32 v10, v8, s19
	v_mul_lo_u32 v11, v9, s18
	v_mad_u64_u32 v[8:9], s[6:7], v8, s18, 0
	v_add3_u32 v9, v9, v10, v11
	v_lshlrev_b64 v[8:9], 3, v[8:9]
	v_add_co_u32_e32 v8, vcc, v12, v8
	v_addc_co_u32_e32 v9, vcc, v13, v9, vcc
	v_lshlrev_b64 v[10:11], 3, v[18:19]
	v_mov_b32_e32 v15, s17
	v_add_co_u32_e32 v14, vcc, s16, v10
	v_addc_co_u32_e32 v15, vcc, v15, v11, vcc
	v_cmp_gt_i32_e32 vcc, s14, v16
	s_and_saveexec_b64 s[6:7], vcc
	s_cbranch_execz .LBB18_82
; %bb.79:
	s_andn2_b64 vcc, exec, s[2:3]
	v_pk_mov_b32 v[10:11], v[8:9], v[8:9] op_sel:[0,1]
	s_cbranch_vccnz .LBB18_81
; %bb.80:
	v_mad_u64_u32 v[10:11], s[8:9], v16, s18, 0
	v_mov_b32_e32 v20, v11
	v_mad_u64_u32 v[20:21], s[8:9], v16, s19, v[20:21]
	v_mov_b32_e32 v11, v20
	v_lshlrev_b64 v[10:11], 3, v[10:11]
	v_add_co_u32_e32 v10, vcc, v14, v10
	v_addc_co_u32_e32 v11, vcc, v15, v11, vcc
	v_add_co_u32_e32 v10, vcc, 0x400, v10
	v_addc_co_u32_e32 v11, vcc, 0, v11, vcc
.LBB18_81:
	global_load_dwordx2 v[10:11], v[10:11], off
	s_waitcnt vmcnt(0)
	v_cmp_neq_f64_e32 vcc, 0, v[10:11]
	v_cndmask_b32_e64 v10, 0, 1, vcc
	v_add_co_u32_e32 v4, vcc, v4, v10
	v_addc_co_u32_e32 v5, vcc, 0, v5, vcc
.LBB18_82:
	s_or_b64 exec, exec, s[6:7]
	v_or_b32_e32 v17, 1, v16
	v_cmp_gt_i32_e32 vcc, s14, v17
	s_and_saveexec_b64 s[6:7], vcc
	s_cbranch_execz .LBB18_88
; %bb.83:
	s_andn2_b64 vcc, exec, s[0:1]
	s_cbranch_vccnz .LBB18_85
; %bb.84:
	v_add_co_u32_e32 v10, vcc, 8, v8
	v_addc_co_u32_e32 v11, vcc, 0, v9, vcc
	s_cbranch_execz .LBB18_86
	s_branch .LBB18_87
.LBB18_85:
                                        ; implicit-def: $vgpr10_vgpr11
.LBB18_86:
	v_mad_u64_u32 v[10:11], s[8:9], v17, s18, 0
	v_mov_b32_e32 v20, v11
	v_mad_u64_u32 v[20:21], s[8:9], v17, s19, v[20:21]
	v_mov_b32_e32 v11, v20
	v_lshlrev_b64 v[10:11], 3, v[10:11]
	v_add_co_u32_e32 v10, vcc, v14, v10
	v_addc_co_u32_e32 v11, vcc, v15, v11, vcc
	v_add_co_u32_e32 v10, vcc, 0x400, v10
	v_addc_co_u32_e32 v11, vcc, 0, v11, vcc
.LBB18_87:
	global_load_dwordx2 v[10:11], v[10:11], off
	s_waitcnt vmcnt(0)
	v_cmp_neq_f64_e32 vcc, 0, v[10:11]
	v_cndmask_b32_e64 v10, 0, 1, vcc
	v_add_co_u32_e32 v4, vcc, v4, v10
	v_addc_co_u32_e32 v5, vcc, 0, v5, vcc
.LBB18_88:
	s_or_b64 exec, exec, s[6:7]
	v_or_b32_e32 v17, 2, v16
	v_cmp_gt_i32_e32 vcc, s14, v17
	s_and_saveexec_b64 s[6:7], vcc
	s_cbranch_execz .LBB18_94
; %bb.89:
	s_andn2_b64 vcc, exec, s[0:1]
	s_cbranch_vccnz .LBB18_91
; %bb.90:
	v_add_co_u32_e32 v10, vcc, 16, v8
	v_addc_co_u32_e32 v11, vcc, 0, v9, vcc
	s_cbranch_execz .LBB18_92
	s_branch .LBB18_93
.LBB18_91:
                                        ; implicit-def: $vgpr10_vgpr11
.LBB18_92:
	v_mad_u64_u32 v[10:11], s[8:9], v17, s18, 0
	v_mov_b32_e32 v20, v11
	v_mad_u64_u32 v[20:21], s[8:9], v17, s19, v[20:21]
	v_mov_b32_e32 v11, v20
	v_lshlrev_b64 v[10:11], 3, v[10:11]
	v_add_co_u32_e32 v10, vcc, v14, v10
	v_addc_co_u32_e32 v11, vcc, v15, v11, vcc
	v_add_co_u32_e32 v10, vcc, 0x400, v10
	v_addc_co_u32_e32 v11, vcc, 0, v11, vcc
.LBB18_93:
	global_load_dwordx2 v[10:11], v[10:11], off
	s_waitcnt vmcnt(0)
	v_cmp_neq_f64_e32 vcc, 0, v[10:11]
	v_cndmask_b32_e64 v10, 0, 1, vcc
	v_add_co_u32_e32 v4, vcc, v4, v10
	v_addc_co_u32_e32 v5, vcc, 0, v5, vcc
.LBB18_94:
	s_or_b64 exec, exec, s[6:7]
	v_or_b32_e32 v10, 3, v16
	v_cmp_gt_i32_e32 vcc, s14, v10
	s_and_saveexec_b64 s[6:7], vcc
	s_cbranch_execz .LBB18_100
; %bb.95:
	s_andn2_b64 vcc, exec, s[0:1]
	s_cbranch_vccnz .LBB18_97
; %bb.96:
	v_add_co_u32_e32 v8, vcc, 24, v8
	v_addc_co_u32_e32 v9, vcc, 0, v9, vcc
	s_cbranch_execz .LBB18_98
	s_branch .LBB18_99
.LBB18_97:
                                        ; implicit-def: $vgpr8_vgpr9
.LBB18_98:
	v_mad_u64_u32 v[8:9], s[8:9], v10, s18, 0
	v_mov_b32_e32 v20, v9
	v_mad_u64_u32 v[10:11], s[8:9], v10, s19, v[20:21]
	v_mov_b32_e32 v9, v10
	v_lshlrev_b64 v[8:9], 3, v[8:9]
	v_add_co_u32_e32 v8, vcc, v14, v8
	v_addc_co_u32_e32 v9, vcc, v15, v9, vcc
	v_add_co_u32_e32 v8, vcc, 0x400, v8
	v_addc_co_u32_e32 v9, vcc, 0, v9, vcc
.LBB18_99:
	global_load_dwordx2 v[8:9], v[8:9], off
	s_waitcnt vmcnt(0)
	v_cmp_neq_f64_e32 vcc, 0, v[8:9]
	v_cndmask_b32_e64 v8, 0, 1, vcc
	v_add_co_u32_e32 v4, vcc, v4, v8
	v_addc_co_u32_e32 v5, vcc, 0, v5, vcc
.LBB18_100:
	s_or_b64 exec, exec, s[6:7]
.LBB18_101:
	s_or_b64 exec, exec, s[4:5]
	v_or_b32_e32 v8, 0xc0, v18
	v_cmp_gt_i32_e32 vcc, s13, v8
	s_and_saveexec_b64 s[4:5], vcc
	s_cbranch_execz .LBB18_125
; %bb.102:
	v_ashrrev_i32_e32 v9, 31, v8
	v_mul_lo_u32 v10, v8, s19
	v_mul_lo_u32 v11, v9, s18
	v_mad_u64_u32 v[8:9], s[6:7], v8, s18, 0
	v_add3_u32 v9, v9, v10, v11
	v_lshlrev_b64 v[8:9], 3, v[8:9]
	v_add_co_u32_e32 v8, vcc, v12, v8
	v_addc_co_u32_e32 v9, vcc, v13, v9, vcc
	v_lshlrev_b64 v[10:11], 3, v[18:19]
	v_mov_b32_e32 v13, s17
	v_add_co_u32_e32 v12, vcc, s16, v10
	v_addc_co_u32_e32 v13, vcc, v13, v11, vcc
	v_cmp_gt_i32_e32 vcc, s14, v16
	s_and_saveexec_b64 s[6:7], vcc
	s_cbranch_execz .LBB18_106
; %bb.103:
	s_andn2_b64 vcc, exec, s[2:3]
	v_pk_mov_b32 v[10:11], v[8:9], v[8:9] op_sel:[0,1]
	s_cbranch_vccnz .LBB18_105
; %bb.104:
	v_mad_u64_u32 v[10:11], s[2:3], v16, s18, 0
	v_mov_b32_e32 v14, v11
	v_mad_u64_u32 v[14:15], s[2:3], v16, s19, v[14:15]
	v_mov_b32_e32 v11, v14
	v_lshlrev_b64 v[10:11], 3, v[10:11]
	v_add_co_u32_e32 v10, vcc, v12, v10
	v_addc_co_u32_e32 v11, vcc, v13, v11, vcc
	v_add_co_u32_e32 v10, vcc, 0x600, v10
	v_addc_co_u32_e32 v11, vcc, 0, v11, vcc
.LBB18_105:
	global_load_dwordx2 v[10:11], v[10:11], off
	s_waitcnt vmcnt(0)
	v_cmp_neq_f64_e32 vcc, 0, v[10:11]
	v_cndmask_b32_e64 v10, 0, 1, vcc
	v_add_co_u32_e32 v6, vcc, v6, v10
	v_addc_co_u32_e32 v7, vcc, 0, v7, vcc
.LBB18_106:
	s_or_b64 exec, exec, s[6:7]
	v_or_b32_e32 v14, 1, v16
	v_cndmask_b32_e64 v10, 0, 1, s[0:1]
	v_cmp_gt_i32_e32 vcc, s14, v14
	v_cmp_ne_u32_e64 s[0:1], 1, v10
	s_and_saveexec_b64 s[2:3], vcc
	s_cbranch_execz .LBB18_112
; %bb.107:
	s_and_b64 vcc, exec, s[0:1]
	s_cbranch_vccnz .LBB18_109
; %bb.108:
	v_add_co_u32_e32 v10, vcc, 8, v8
	v_addc_co_u32_e32 v11, vcc, 0, v9, vcc
	s_cbranch_execz .LBB18_110
	s_branch .LBB18_111
.LBB18_109:
                                        ; implicit-def: $vgpr10_vgpr11
.LBB18_110:
	v_mad_u64_u32 v[10:11], s[6:7], v14, s18, 0
	v_mov_b32_e32 v18, v11
	v_mad_u64_u32 v[14:15], s[6:7], v14, s19, v[18:19]
	v_mov_b32_e32 v11, v14
	v_lshlrev_b64 v[10:11], 3, v[10:11]
	v_add_co_u32_e32 v10, vcc, v12, v10
	v_addc_co_u32_e32 v11, vcc, v13, v11, vcc
	v_add_co_u32_e32 v10, vcc, 0x600, v10
	v_addc_co_u32_e32 v11, vcc, 0, v11, vcc
.LBB18_111:
	global_load_dwordx2 v[10:11], v[10:11], off
	s_waitcnt vmcnt(0)
	v_cmp_neq_f64_e32 vcc, 0, v[10:11]
	v_cndmask_b32_e64 v10, 0, 1, vcc
	v_add_co_u32_e32 v6, vcc, v6, v10
	v_addc_co_u32_e32 v7, vcc, 0, v7, vcc
.LBB18_112:
	s_or_b64 exec, exec, s[2:3]
	v_or_b32_e32 v14, 2, v16
	v_cmp_gt_i32_e32 vcc, s14, v14
	s_and_saveexec_b64 s[2:3], vcc
	s_cbranch_execz .LBB18_118
; %bb.113:
	s_and_b64 vcc, exec, s[0:1]
	s_cbranch_vccnz .LBB18_115
; %bb.114:
	v_add_co_u32_e32 v10, vcc, 16, v8
	v_addc_co_u32_e32 v11, vcc, 0, v9, vcc
	s_cbranch_execz .LBB18_116
	s_branch .LBB18_117
.LBB18_115:
                                        ; implicit-def: $vgpr10_vgpr11
.LBB18_116:
	v_mad_u64_u32 v[10:11], s[6:7], v14, s18, 0
	v_mov_b32_e32 v18, v11
	v_mad_u64_u32 v[14:15], s[6:7], v14, s19, v[18:19]
	v_mov_b32_e32 v11, v14
	v_lshlrev_b64 v[10:11], 3, v[10:11]
	v_add_co_u32_e32 v10, vcc, v12, v10
	v_addc_co_u32_e32 v11, vcc, v13, v11, vcc
	v_add_co_u32_e32 v10, vcc, 0x600, v10
	v_addc_co_u32_e32 v11, vcc, 0, v11, vcc
.LBB18_117:
	global_load_dwordx2 v[10:11], v[10:11], off
	s_waitcnt vmcnt(0)
	v_cmp_neq_f64_e32 vcc, 0, v[10:11]
	v_cndmask_b32_e64 v10, 0, 1, vcc
	v_add_co_u32_e32 v6, vcc, v6, v10
	v_addc_co_u32_e32 v7, vcc, 0, v7, vcc
.LBB18_118:
	s_or_b64 exec, exec, s[2:3]
	v_or_b32_e32 v10, 3, v16
	v_cmp_gt_i32_e32 vcc, s14, v10
	s_and_saveexec_b64 s[2:3], vcc
	s_cbranch_execz .LBB18_124
; %bb.119:
	s_and_b64 vcc, exec, s[0:1]
	s_cbranch_vccnz .LBB18_121
; %bb.120:
	v_add_co_u32_e32 v8, vcc, 24, v8
	v_addc_co_u32_e32 v9, vcc, 0, v9, vcc
	s_cbranch_execz .LBB18_122
	s_branch .LBB18_123
.LBB18_121:
                                        ; implicit-def: $vgpr8_vgpr9
.LBB18_122:
	v_mad_u64_u32 v[8:9], s[0:1], v10, s18, 0
	v_mov_b32_e32 v14, v9
	v_mad_u64_u32 v[10:11], s[0:1], v10, s19, v[14:15]
	v_mov_b32_e32 v9, v10
	v_lshlrev_b64 v[8:9], 3, v[8:9]
	v_add_co_u32_e32 v8, vcc, v12, v8
	v_addc_co_u32_e32 v9, vcc, v13, v9, vcc
	v_add_co_u32_e32 v8, vcc, 0x600, v8
	v_addc_co_u32_e32 v9, vcc, 0, v9, vcc
.LBB18_123:
	global_load_dwordx2 v[8:9], v[8:9], off
	s_waitcnt vmcnt(0)
	v_cmp_neq_f64_e32 vcc, 0, v[8:9]
	v_cndmask_b32_e64 v8, 0, 1, vcc
	v_add_co_u32_e32 v6, vcc, v6, v8
	v_addc_co_u32_e32 v7, vcc, 0, v7, vcc
.LBB18_124:
	s_or_b64 exec, exec, s[2:3]
.LBB18_125:
	s_or_b64 exec, exec, s[4:5]
.LBB18_126:
	v_lshlrev_b32_e32 v8, 2, v33
	s_mov_b32 s0, 0x1fffff00
	v_and_or_b32 v8, v8, s0, v35
	s_movk_i32 s0, 0x100
	v_lshlrev_b32_e32 v8, 3, v8
	v_cmp_gt_u32_e32 vcc, s0, v33
	ds_write2st64_b64 v8, v[0:1], v[2:3] offset1:1
	ds_write2st64_b64 v8, v[4:5], v[6:7] offset0:2 offset1:3
	s_waitcnt lgkmcnt(0)
	s_barrier
	s_and_saveexec_b64 s[0:1], vcc
	s_cbranch_execz .LBB18_129
; %bb.127:
	v_lshlrev_b32_e32 v1, 3, v33
	ds_read2st64_b64 v[2:5], v1 offset1:4
	ds_read2st64_b64 v[6:9], v1 offset0:8 offset1:12
	v_add_u32_e32 v0, s15, v33
	s_waitcnt lgkmcnt(1)
	v_add_co_u32_e32 v2, vcc, v2, v4
	v_addc_co_u32_e32 v3, vcc, v3, v5, vcc
	s_waitcnt lgkmcnt(0)
	v_add_co_u32_e32 v6, vcc, v2, v6
	v_addc_co_u32_e32 v7, vcc, v3, v7, vcc
	ds_read2st64_b64 v[2:5], v1 offset0:16 offset1:20
	v_add_co_u32_e32 v6, vcc, v6, v8
	v_addc_co_u32_e32 v7, vcc, v7, v9, vcc
	s_waitcnt lgkmcnt(0)
	v_add_co_u32_e32 v2, vcc, v6, v2
	v_addc_co_u32_e32 v3, vcc, v7, v3, vcc
	ds_read2st64_b64 v[6:9], v1 offset0:24 offset1:28
	;; [unrolled: 6-line block ×6, first 2 shown]
	v_add_co_u32_e32 v2, vcc, v2, v4
	v_addc_co_u32_e32 v3, vcc, v3, v5, vcc
	s_waitcnt lgkmcnt(0)
	v_add_co_u32_e32 v2, vcc, v2, v6
	v_addc_co_u32_e32 v3, vcc, v3, v7, vcc
	v_add_co_u32_e32 v2, vcc, v2, v8
	v_addc_co_u32_e32 v3, vcc, v3, v9, vcc
	v_cmp_gt_i32_e32 vcc, s13, v0
	ds_write_b64 v1, v[2:3]
	s_and_b64 exec, exec, vcc
	s_cbranch_execz .LBB18_129
; %bb.128:
	v_ashrrev_i32_e32 v1, 31, v0
	v_lshlrev_b64 v[0:1], 3, v[0:1]
	v_mov_b32_e32 v4, s11
	v_add_co_u32_e32 v0, vcc, s10, v0
	v_addc_co_u32_e32 v1, vcc, v4, v1, vcc
	global_store_dwordx2 v[0:1], v[2:3], off
.LBB18_129:
	s_endpgm
	.section	.rodata,"a",@progbits
	.p2align	6, 0x0
	.amdhsa_kernel _ZN9rocsparseL14nnz_kernel_rowILi64ELi16ElidEEv16rocsparse_order_T2_S2_PKT3_lPT1_
		.amdhsa_group_segment_fixed_size 32768
		.amdhsa_private_segment_fixed_size 0
		.amdhsa_kernarg_size 296
		.amdhsa_user_sgpr_count 6
		.amdhsa_user_sgpr_private_segment_buffer 1
		.amdhsa_user_sgpr_dispatch_ptr 0
		.amdhsa_user_sgpr_queue_ptr 0
		.amdhsa_user_sgpr_kernarg_segment_ptr 1
		.amdhsa_user_sgpr_dispatch_id 0
		.amdhsa_user_sgpr_flat_scratch_init 0
		.amdhsa_user_sgpr_kernarg_preload_length 0
		.amdhsa_user_sgpr_kernarg_preload_offset 0
		.amdhsa_user_sgpr_private_segment_size 0
		.amdhsa_uses_dynamic_stack 0
		.amdhsa_system_sgpr_private_segment_wavefront_offset 0
		.amdhsa_system_sgpr_workgroup_id_x 1
		.amdhsa_system_sgpr_workgroup_id_y 0
		.amdhsa_system_sgpr_workgroup_id_z 0
		.amdhsa_system_sgpr_workgroup_info 0
		.amdhsa_system_vgpr_workitem_id 1
		.amdhsa_next_free_vgpr 46
		.amdhsa_next_free_sgpr 38
		.amdhsa_accum_offset 48
		.amdhsa_reserve_vcc 1
		.amdhsa_reserve_flat_scratch 0
		.amdhsa_float_round_mode_32 0
		.amdhsa_float_round_mode_16_64 0
		.amdhsa_float_denorm_mode_32 3
		.amdhsa_float_denorm_mode_16_64 3
		.amdhsa_dx10_clamp 1
		.amdhsa_ieee_mode 1
		.amdhsa_fp16_overflow 0
		.amdhsa_tg_split 0
		.amdhsa_exception_fp_ieee_invalid_op 0
		.amdhsa_exception_fp_denorm_src 0
		.amdhsa_exception_fp_ieee_div_zero 0
		.amdhsa_exception_fp_ieee_overflow 0
		.amdhsa_exception_fp_ieee_underflow 0
		.amdhsa_exception_fp_ieee_inexact 0
		.amdhsa_exception_int_div_zero 0
	.end_amdhsa_kernel
	.section	.text._ZN9rocsparseL14nnz_kernel_rowILi64ELi16ElidEEv16rocsparse_order_T2_S2_PKT3_lPT1_,"axG",@progbits,_ZN9rocsparseL14nnz_kernel_rowILi64ELi16ElidEEv16rocsparse_order_T2_S2_PKT3_lPT1_,comdat
.Lfunc_end18:
	.size	_ZN9rocsparseL14nnz_kernel_rowILi64ELi16ElidEEv16rocsparse_order_T2_S2_PKT3_lPT1_, .Lfunc_end18-_ZN9rocsparseL14nnz_kernel_rowILi64ELi16ElidEEv16rocsparse_order_T2_S2_PKT3_lPT1_
                                        ; -- End function
	.section	.AMDGPU.csdata,"",@progbits
; Kernel info:
; codeLenInByte = 5196
; NumSgprs: 42
; NumVgprs: 46
; NumAgprs: 0
; TotalNumVgprs: 46
; ScratchSize: 0
; MemoryBound: 0
; FloatMode: 240
; IeeeMode: 1
; LDSByteSize: 32768 bytes/workgroup (compile time only)
; SGPRBlocks: 5
; VGPRBlocks: 5
; NumSGPRsForWavesPerEU: 42
; NumVGPRsForWavesPerEU: 46
; AccumOffset: 48
; Occupancy: 8
; WaveLimiterHint : 0
; COMPUTE_PGM_RSRC2:SCRATCH_EN: 0
; COMPUTE_PGM_RSRC2:USER_SGPR: 6
; COMPUTE_PGM_RSRC2:TRAP_HANDLER: 0
; COMPUTE_PGM_RSRC2:TGID_X_EN: 1
; COMPUTE_PGM_RSRC2:TGID_Y_EN: 0
; COMPUTE_PGM_RSRC2:TGID_Z_EN: 0
; COMPUTE_PGM_RSRC2:TIDIG_COMP_CNT: 1
; COMPUTE_PGM_RSRC3_GFX90A:ACCUM_OFFSET: 11
; COMPUTE_PGM_RSRC3_GFX90A:TG_SPLIT: 0
	.section	.text._ZN9rocsparseL14nnz_kernel_colILi256ElidEEv16rocsparse_order_T1_S2_PKT2_lPT0_,"axG",@progbits,_ZN9rocsparseL14nnz_kernel_colILi256ElidEEv16rocsparse_order_T1_S2_PKT2_lPT0_,comdat
	.globl	_ZN9rocsparseL14nnz_kernel_colILi256ElidEEv16rocsparse_order_T1_S2_PKT2_lPT0_ ; -- Begin function _ZN9rocsparseL14nnz_kernel_colILi256ElidEEv16rocsparse_order_T1_S2_PKT2_lPT0_
	.p2align	8
	.type	_ZN9rocsparseL14nnz_kernel_colILi256ElidEEv16rocsparse_order_T1_S2_PKT2_lPT0_,@function
_ZN9rocsparseL14nnz_kernel_colILi256ElidEEv16rocsparse_order_T1_S2_PKT2_lPT0_: ; @_ZN9rocsparseL14nnz_kernel_colILi256ElidEEv16rocsparse_order_T1_S2_PKT2_lPT0_
; %bb.0:
	s_load_dwordx2 s[8:9], s[4:5], 0x0
	s_load_dwordx4 s[0:3], s[4:5], 0x10
	s_waitcnt lgkmcnt(0)
	s_ashr_i32 s7, s9, 31
	s_lshr_b32 s7, s7, 24
	s_add_i32 s7, s9, s7
	s_and_b32 s10, s7, 0xffffff00
	s_cmp_eq_u32 s8, 1
	s_cbranch_scc1 .LBB19_6
; %bb.1:
	s_cmpk_lt_i32 s9, 0x100
	v_pk_mov_b32 v[2:3], 0, 0
	s_cbranch_scc1 .LBB19_7
; %bb.2:
	v_mad_u64_u32 v[2:3], s[12:13], s2, v0, 0
	v_mov_b32_e32 v4, v3
	s_ashr_i32 s7, s6, 31
	v_mad_u64_u32 v[4:5], s[12:13], s3, v0, v[4:5]
	s_lshl_b64 s[12:13], s[6:7], 3
	v_mov_b32_e32 v3, v4
	s_add_u32 s7, s0, s12
	v_lshlrev_b64 v[2:3], 3, v[2:3]
	s_addc_u32 s8, s1, s13
	v_mov_b32_e32 v1, s8
	v_add_co_u32_e32 v4, vcc, s7, v2
	s_lshl_b64 s[12:13], s[2:3], 11
	v_addc_co_u32_e32 v5, vcc, v1, v3, vcc
	s_mov_b32 s7, 0
	v_pk_mov_b32 v[2:3], 0, 0
	v_mov_b32_e32 v1, s13
	s_branch .LBB19_4
.LBB19_3:                               ;   in Loop: Header=BB19_4 Depth=1
	s_or_b64 exec, exec, s[14:15]
	s_addk_i32 s7, 0x100
	v_add_co_u32_e32 v4, vcc, s12, v4
	s_cmp_ge_i32 s7, s10
	v_addc_co_u32_e32 v5, vcc, v5, v1, vcc
	s_cbranch_scc1 .LBB19_7
.LBB19_4:                               ; =>This Inner Loop Header: Depth=1
	v_add_u32_e32 v6, s7, v0
	v_cmp_gt_i32_e32 vcc, s9, v6
	s_and_saveexec_b64 s[14:15], vcc
	s_cbranch_execz .LBB19_3
; %bb.5:                                ;   in Loop: Header=BB19_4 Depth=1
	global_load_dwordx2 v[6:7], v[4:5], off
	s_waitcnt vmcnt(0)
	v_cmp_neq_f64_e32 vcc, 0, v[6:7]
	v_cndmask_b32_e64 v6, 0, 1, vcc
	v_add_co_u32_e32 v2, vcc, v2, v6
	v_addc_co_u32_e32 v3, vcc, 0, v3, vcc
	s_branch .LBB19_3
.LBB19_6:
	s_mov_b64 s[12:13], 0
                                        ; implicit-def: $vgpr2_vgpr3
                                        ; implicit-def: $vgpr4_vgpr5
	s_cbranch_execnz .LBB19_10
	s_branch .LBB19_16
.LBB19_7:
	v_add_u32_e32 v1, s10, v0
	v_cmp_gt_i32_e32 vcc, s9, v1
	s_mov_b64 s[14:15], 0
	s_mov_b64 s[12:13], 0
                                        ; implicit-def: $vgpr4_vgpr5
	s_and_saveexec_b64 s[16:17], vcc
	s_xor_b64 s[16:17], exec, s[16:17]
	s_cbranch_execz .LBB19_9
; %bb.8:
	v_ashrrev_i32_e32 v4, 31, v1
	s_ashr_i32 s7, s6, 31
	v_mul_lo_u32 v7, v4, s2
	v_mad_u64_u32 v[4:5], s[18:19], v1, s2, 0
	v_mul_lo_u32 v6, v1, s3
	s_lshl_b64 s[18:19], s[6:7], 3
	v_add3_u32 v5, v5, v6, v7
	s_add_u32 s7, s18, s0
	v_lshlrev_b64 v[4:5], 3, v[4:5]
	s_addc_u32 s8, s19, s1
	v_mov_b32_e32 v1, s8
	v_add_co_u32_e32 v4, vcc, s7, v4
	s_mov_b64 s[12:13], exec
	v_addc_co_u32_e32 v5, vcc, v1, v5, vcc
.LBB19_9:
	s_or_b64 exec, exec, s[16:17]
	s_and_b64 vcc, exec, s[14:15]
	s_cbranch_vccz .LBB19_16
.LBB19_10:
	s_ashr_i32 s7, s6, 31
	s_mul_i32 s3, s6, s3
	s_mul_hi_u32 s8, s6, s2
	s_add_i32 s3, s8, s3
	s_mul_i32 s7, s7, s2
	s_add_i32 s15, s3, s7
	s_mul_i32 s14, s6, s2
	v_cmp_gt_i32_e32 vcc, s9, v0
	s_lshl_b64 s[14:15], s[14:15], 3
	v_cndmask_b32_e32 v1, 0, v0, vcc
	s_add_u32 s0, s0, s14
	s_addc_u32 s1, s1, s15
	v_lshlrev_b32_e32 v1, 3, v1
	v_mov_b32_e32 v2, s1
	v_add_co_u32_e32 v6, vcc, s0, v1
	s_mov_b32 s2, 0
	v_addc_co_u32_e32 v7, vcc, 0, v2, vcc
	s_cmpk_lt_i32 s9, 0x100
	v_pk_mov_b32 v[2:3], 0, 0
	s_cbranch_scc1 .LBB19_13
; %bb.11:
	v_pk_mov_b32 v[2:3], 0, 0
	v_pk_mov_b32 v[4:5], v[6:7], v[6:7] op_sel:[0,1]
.LBB19_12:                              ; =>This Inner Loop Header: Depth=1
	global_load_dwordx2 v[8:9], v[4:5], off
	v_add_co_u32_e32 v4, vcc, 0x800, v4
	v_addc_co_u32_e32 v5, vcc, 0, v5, vcc
	s_addk_i32 s2, 0x100
	s_cmp_ge_i32 s2, s10
	s_waitcnt vmcnt(0)
	v_cmp_neq_f64_e32 vcc, 0, v[8:9]
	v_cndmask_b32_e64 v1, 0, 1, vcc
	v_add_co_u32_e32 v2, vcc, v2, v1
	v_addc_co_u32_e32 v3, vcc, 0, v3, vcc
	s_cbranch_scc0 .LBB19_12
.LBB19_13:
	v_add_u32_e32 v1, s10, v0
	v_cmp_gt_i32_e32 vcc, s9, v1
                                        ; implicit-def: $vgpr4_vgpr5
	s_and_saveexec_b64 s[0:1], vcc
; %bb.14:
	s_ashr_i32 s11, s10, 31
	s_lshl_b64 s[2:3], s[10:11], 3
	v_mov_b32_e32 v1, s3
	v_add_co_u32_e32 v4, vcc, s2, v6
	v_addc_co_u32_e32 v5, vcc, v7, v1, vcc
	s_or_b64 s[12:13], s[12:13], exec
; %bb.15:
	s_or_b64 exec, exec, s[0:1]
.LBB19_16:
	s_and_saveexec_b64 s[0:1], s[12:13]
	s_cbranch_execz .LBB19_18
; %bb.17:
	global_load_dwordx2 v[4:5], v[4:5], off
	s_waitcnt vmcnt(0)
	v_cmp_neq_f64_e32 vcc, 0, v[4:5]
	v_cndmask_b32_e64 v1, 0, 1, vcc
	v_add_co_u32_e32 v2, vcc, v2, v1
	v_addc_co_u32_e32 v3, vcc, 0, v3, vcc
.LBB19_18:
	s_or_b64 exec, exec, s[0:1]
	v_lshlrev_b32_e32 v1, 3, v0
	s_cmpk_lt_i32 s9, 0x100
	s_mov_b64 s[0:1], -1
	v_cmp_eq_u32_e32 vcc, 0, v0
	ds_write_b64 v1, v[2:3]
	s_waitcnt lgkmcnt(0)
	s_cbranch_scc1 .LBB19_22
; %bb.19:
	s_and_b64 vcc, exec, s[0:1]
	s_cbranch_vccnz .LBB19_32
.LBB19_20:
	v_cmp_eq_u32_e32 vcc, 0, v0
	s_and_saveexec_b64 s[0:1], vcc
	s_cbranch_execnz .LBB19_49
.LBB19_21:
	s_endpgm
.LBB19_22:
	s_cmp_gt_i32 s9, 1
	s_cselect_b64 s[0:1], -1, 0
	s_mov_b32 s3, 1
	s_and_b64 s[10:11], vcc, s[0:1]
	s_barrier
	s_and_saveexec_b64 s[0:1], s[10:11]
	s_cbranch_execz .LBB19_31
; %bb.23:
	v_mov_b32_e32 v2, 0
	ds_read_b64 v[2:3], v2
	s_add_i32 s2, s9, -1
	s_add_i32 s7, s9, -2
	s_cmp_lt_u32 s7, 7
	s_cbranch_scc1 .LBB19_27
; %bb.24:
	s_and_b32 s3, s2, -8
	s_mov_b32 s8, 0
	s_mov_b32 s7, 8
.LBB19_25:                              ; =>This Inner Loop Header: Depth=1
	v_mov_b32_e32 v16, s7
	ds_read2_b64 v[4:7], v16 offset1:1
	ds_read2_b64 v[8:11], v16 offset0:2 offset1:3
	ds_read2_b64 v[12:15], v16 offset0:4 offset1:5
	;; [unrolled: 1-line block ×3, first 2 shown]
	s_mov_b32 s9, s8
	s_waitcnt lgkmcnt(3)
	v_add_co_u32_e32 v2, vcc, v2, v4
	v_addc_co_u32_e32 v3, vcc, v3, v5, vcc
	v_add_co_u32_e32 v2, vcc, v2, v6
	v_addc_co_u32_e32 v3, vcc, v3, v7, vcc
	s_waitcnt lgkmcnt(2)
	v_add_co_u32_e32 v2, vcc, v2, v8
	v_addc_co_u32_e32 v3, vcc, v3, v9, vcc
	v_add_co_u32_e32 v2, vcc, v2, v10
	v_addc_co_u32_e32 v3, vcc, v3, v11, vcc
	;; [unrolled: 5-line block ×3, first 2 shown]
	s_waitcnt lgkmcnt(0)
	v_add_co_u32_e32 v2, vcc, v2, v16
	v_addc_co_u32_e32 v3, vcc, v3, v17, vcc
	s_add_i32 s7, s7, 64
	s_add_i32 s8, s8, 8
	v_add_co_u32_e32 v2, vcc, v2, v18
	s_cmp_lg_u32 s3, s8
	v_addc_co_u32_e32 v3, vcc, v3, v19, vcc
	s_cbranch_scc1 .LBB19_25
; %bb.26:
	s_add_i32 s3, s9, 9
.LBB19_27:
	s_and_b32 s2, s2, 7
	s_cmp_eq_u32 s2, 0
	s_cbranch_scc1 .LBB19_30
; %bb.28:
	s_lshl_b32 s3, s3, 3
.LBB19_29:                              ; =>This Inner Loop Header: Depth=1
	v_mov_b32_e32 v4, s3
	ds_read_b64 v[4:5], v4
	s_add_i32 s3, s3, 8
	s_add_i32 s2, s2, -1
	s_cmp_lg_u32 s2, 0
	s_waitcnt lgkmcnt(0)
	v_add_co_u32_e32 v2, vcc, v2, v4
	v_addc_co_u32_e32 v3, vcc, v3, v5, vcc
	s_cbranch_scc1 .LBB19_29
.LBB19_30:
	v_mov_b32_e32 v4, 0
	s_waitcnt lgkmcnt(0)
	ds_write_b64 v4, v[2:3]
.LBB19_31:
	s_or_b64 exec, exec, s[0:1]
	s_waitcnt lgkmcnt(0)
	s_barrier
	s_branch .LBB19_20
.LBB19_32:
	s_movk_i32 s0, 0x80
	v_cmp_gt_u32_e32 vcc, s0, v0
	s_barrier
	s_and_saveexec_b64 s[0:1], vcc
	s_cbranch_execz .LBB19_34
; %bb.33:
	ds_read2st64_b64 v[2:5], v1 offset1:2
	s_waitcnt lgkmcnt(0)
	v_add_co_u32_e32 v2, vcc, v2, v4
	v_addc_co_u32_e32 v3, vcc, v3, v5, vcc
	ds_write_b64 v1, v[2:3]
.LBB19_34:
	s_or_b64 exec, exec, s[0:1]
	v_cmp_gt_u32_e32 vcc, 64, v0
	s_waitcnt lgkmcnt(0)
	s_barrier
	s_and_saveexec_b64 s[0:1], vcc
	s_cbranch_execz .LBB19_36
; %bb.35:
	ds_read2st64_b64 v[2:5], v1 offset1:1
	s_waitcnt lgkmcnt(0)
	v_add_co_u32_e32 v2, vcc, v2, v4
	v_addc_co_u32_e32 v3, vcc, v3, v5, vcc
	ds_write_b64 v1, v[2:3]
.LBB19_36:
	s_or_b64 exec, exec, s[0:1]
	v_cmp_gt_u32_e32 vcc, 32, v0
	s_waitcnt lgkmcnt(0)
	s_barrier
	s_and_saveexec_b64 s[0:1], vcc
	s_cbranch_execz .LBB19_38
; %bb.37:
	ds_read2_b64 v[2:5], v1 offset1:32
	s_waitcnt lgkmcnt(0)
	v_add_co_u32_e32 v2, vcc, v2, v4
	v_addc_co_u32_e32 v3, vcc, v3, v5, vcc
	ds_write_b64 v1, v[2:3]
.LBB19_38:
	s_or_b64 exec, exec, s[0:1]
	v_cmp_gt_u32_e32 vcc, 16, v0
	s_waitcnt lgkmcnt(0)
	s_barrier
	s_and_saveexec_b64 s[0:1], vcc
	s_cbranch_execz .LBB19_40
; %bb.39:
	ds_read2_b64 v[2:5], v1 offset1:16
	s_waitcnt lgkmcnt(0)
	v_add_co_u32_e32 v2, vcc, v2, v4
	v_addc_co_u32_e32 v3, vcc, v3, v5, vcc
	ds_write_b64 v1, v[2:3]
.LBB19_40:
	;; [unrolled: 13-line block ×5, first 2 shown]
	s_or_b64 exec, exec, s[0:1]
	v_cmp_eq_u32_e32 vcc, 0, v0
	s_waitcnt lgkmcnt(0)
	s_barrier
	s_and_saveexec_b64 s[0:1], vcc
	s_cbranch_execz .LBB19_48
; %bb.47:
	v_mov_b32_e32 v1, 0
	ds_read_b128 v[2:5], v1
	s_waitcnt lgkmcnt(0)
	v_add_co_u32_e32 v2, vcc, v2, v4
	v_addc_co_u32_e32 v3, vcc, v3, v5, vcc
	ds_write_b64 v1, v[2:3]
.LBB19_48:
	s_or_b64 exec, exec, s[0:1]
	s_waitcnt lgkmcnt(0)
	s_barrier
	v_cmp_eq_u32_e32 vcc, 0, v0
	s_and_saveexec_b64 s[0:1], vcc
	s_cbranch_execz .LBB19_21
.LBB19_49:
	s_load_dwordx2 s[0:1], s[4:5], 0x20
	v_mov_b32_e32 v2, 0
	ds_read_b64 v[0:1], v2
	s_ashr_i32 s7, s6, 31
	s_lshl_b64 s[2:3], s[6:7], 3
	s_waitcnt lgkmcnt(0)
	s_add_u32 s0, s0, s2
	s_addc_u32 s1, s1, s3
	global_store_dwordx2 v2, v[0:1], s[0:1]
	s_endpgm
	.section	.rodata,"a",@progbits
	.p2align	6, 0x0
	.amdhsa_kernel _ZN9rocsparseL14nnz_kernel_colILi256ElidEEv16rocsparse_order_T1_S2_PKT2_lPT0_
		.amdhsa_group_segment_fixed_size 2048
		.amdhsa_private_segment_fixed_size 0
		.amdhsa_kernarg_size 40
		.amdhsa_user_sgpr_count 6
		.amdhsa_user_sgpr_private_segment_buffer 1
		.amdhsa_user_sgpr_dispatch_ptr 0
		.amdhsa_user_sgpr_queue_ptr 0
		.amdhsa_user_sgpr_kernarg_segment_ptr 1
		.amdhsa_user_sgpr_dispatch_id 0
		.amdhsa_user_sgpr_flat_scratch_init 0
		.amdhsa_user_sgpr_kernarg_preload_length 0
		.amdhsa_user_sgpr_kernarg_preload_offset 0
		.amdhsa_user_sgpr_private_segment_size 0
		.amdhsa_uses_dynamic_stack 0
		.amdhsa_system_sgpr_private_segment_wavefront_offset 0
		.amdhsa_system_sgpr_workgroup_id_x 1
		.amdhsa_system_sgpr_workgroup_id_y 0
		.amdhsa_system_sgpr_workgroup_id_z 0
		.amdhsa_system_sgpr_workgroup_info 0
		.amdhsa_system_vgpr_workitem_id 0
		.amdhsa_next_free_vgpr 20
		.amdhsa_next_free_sgpr 20
		.amdhsa_accum_offset 20
		.amdhsa_reserve_vcc 1
		.amdhsa_reserve_flat_scratch 0
		.amdhsa_float_round_mode_32 0
		.amdhsa_float_round_mode_16_64 0
		.amdhsa_float_denorm_mode_32 3
		.amdhsa_float_denorm_mode_16_64 3
		.amdhsa_dx10_clamp 1
		.amdhsa_ieee_mode 1
		.amdhsa_fp16_overflow 0
		.amdhsa_tg_split 0
		.amdhsa_exception_fp_ieee_invalid_op 0
		.amdhsa_exception_fp_denorm_src 0
		.amdhsa_exception_fp_ieee_div_zero 0
		.amdhsa_exception_fp_ieee_overflow 0
		.amdhsa_exception_fp_ieee_underflow 0
		.amdhsa_exception_fp_ieee_inexact 0
		.amdhsa_exception_int_div_zero 0
	.end_amdhsa_kernel
	.section	.text._ZN9rocsparseL14nnz_kernel_colILi256ElidEEv16rocsparse_order_T1_S2_PKT2_lPT0_,"axG",@progbits,_ZN9rocsparseL14nnz_kernel_colILi256ElidEEv16rocsparse_order_T1_S2_PKT2_lPT0_,comdat
.Lfunc_end19:
	.size	_ZN9rocsparseL14nnz_kernel_colILi256ElidEEv16rocsparse_order_T1_S2_PKT2_lPT0_, .Lfunc_end19-_ZN9rocsparseL14nnz_kernel_colILi256ElidEEv16rocsparse_order_T1_S2_PKT2_lPT0_
                                        ; -- End function
	.section	.AMDGPU.csdata,"",@progbits
; Kernel info:
; codeLenInByte = 1436
; NumSgprs: 24
; NumVgprs: 20
; NumAgprs: 0
; TotalNumVgprs: 20
; ScratchSize: 0
; MemoryBound: 0
; FloatMode: 240
; IeeeMode: 1
; LDSByteSize: 2048 bytes/workgroup (compile time only)
; SGPRBlocks: 2
; VGPRBlocks: 2
; NumSGPRsForWavesPerEU: 24
; NumVGPRsForWavesPerEU: 20
; AccumOffset: 20
; Occupancy: 8
; WaveLimiterHint : 0
; COMPUTE_PGM_RSRC2:SCRATCH_EN: 0
; COMPUTE_PGM_RSRC2:USER_SGPR: 6
; COMPUTE_PGM_RSRC2:TRAP_HANDLER: 0
; COMPUTE_PGM_RSRC2:TGID_X_EN: 1
; COMPUTE_PGM_RSRC2:TGID_Y_EN: 0
; COMPUTE_PGM_RSRC2:TGID_Z_EN: 0
; COMPUTE_PGM_RSRC2:TIDIG_COMP_CNT: 0
; COMPUTE_PGM_RSRC3_GFX90A:ACCUM_OFFSET: 4
; COMPUTE_PGM_RSRC3_GFX90A:TG_SPLIT: 0
	.section	.text._ZN9rocsparseL14nnz_kernel_rowILi64ELi16Eli21rocsparse_complex_numIfEEEv16rocsparse_order_T2_S4_PKT3_lPT1_,"axG",@progbits,_ZN9rocsparseL14nnz_kernel_rowILi64ELi16Eli21rocsparse_complex_numIfEEEv16rocsparse_order_T2_S4_PKT3_lPT1_,comdat
	.globl	_ZN9rocsparseL14nnz_kernel_rowILi64ELi16Eli21rocsparse_complex_numIfEEEv16rocsparse_order_T2_S4_PKT3_lPT1_ ; -- Begin function _ZN9rocsparseL14nnz_kernel_rowILi64ELi16Eli21rocsparse_complex_numIfEEEv16rocsparse_order_T2_S4_PKT3_lPT1_
	.p2align	8
	.type	_ZN9rocsparseL14nnz_kernel_rowILi64ELi16Eli21rocsparse_complex_numIfEEEv16rocsparse_order_T2_S4_PKT3_lPT1_,@function
_ZN9rocsparseL14nnz_kernel_rowILi64ELi16Eli21rocsparse_complex_numIfEEEv16rocsparse_order_T2_S4_PKT3_lPT1_: ; @_ZN9rocsparseL14nnz_kernel_rowILi64ELi16Eli21rocsparse_complex_numIfEEEv16rocsparse_order_T2_S4_PKT3_lPT1_
; %bb.0:
	s_load_dword s0, s[4:5], 0x34
	s_load_dwordx2 s[34:35], s[4:5], 0x20
	s_load_dwordx8 s[24:31], s[4:5], 0x0
	v_and_b32_e32 v1, 0x3ff, v0
	v_bfe_u32 v0, v0, 10, 10
	s_waitcnt lgkmcnt(0)
	s_and_b32 s0, s0, 0xffff
	v_mad_u32_u24 v33, v0, s0, v1
	s_ashr_i32 s0, s26, 31
	s_lshr_b32 s0, s0, 26
	s_mov_b32 s8, 0
	v_and_b32_e32 v35, 63, v33
	s_lshl_b32 s27, s6, 8
	s_add_i32 s33, s26, s0
	v_lshrrev_b32_e32 v0, 4, v33
	s_mov_b32 s9, s8
	v_or_b32_e32 v18, s27, v35
	s_andn2_b32 s33, s33, 63
	v_and_b32_e32 v16, 0x7ffffc, v0
	s_mov_b32 s10, s8
	s_mov_b32 s11, s8
	;; [unrolled: 1-line block ×6, first 2 shown]
	v_pk_mov_b32 v[0:1], s[8:9], s[8:9] op_sel:[0,1]
	v_cmp_gt_i32_e32 vcc, s33, v16
	v_pk_mov_b32 v[2:3], s[10:11], s[10:11] op_sel:[0,1]
	v_pk_mov_b32 v[4:5], s[12:13], s[12:13] op_sel:[0,1]
	;; [unrolled: 1-line block ×3, first 2 shown]
	v_or_b32_e32 v36, 64, v18
	s_and_saveexec_b64 s[36:37], vcc
	s_cbranch_execz .LBB20_28
; %bb.1:
	v_or_b32_e32 v0, 0x80, v18
	v_cmp_gt_i32_e64 s[4:5], s25, v0
	v_or_b32_e32 v0, 0xc0, v18
	v_cmp_gt_i32_e64 s[6:7], s25, v0
	v_add_u32_e32 v0, s27, v35
	v_ashrrev_i32_e32 v1, 31, v0
	v_mul_lo_u32 v4, s30, v1
	v_mul_lo_u32 v5, s31, v0
	v_mad_u64_u32 v[2:3], s[16:17], s30, v0, 0
	v_add3_u32 v3, v3, v4, v5
	v_lshrrev_b32_e32 v8, 6, v33
	v_lshlrev_b64 v[2:3], 3, v[2:3]
	v_lshlrev_b32_e32 v9, 5, v8
	v_lshlrev_b32_e32 v10, 2, v8
	v_add_co_u32_e32 v20, vcc, v2, v9
	v_or_b32_e32 v5, 3, v10
	v_addc_co_u32_e32 v17, vcc, 0, v3, vcc
	v_mad_u64_u32 v[2:3], s[16:17], s30, v5, 0
	v_mov_b32_e32 v4, v3
	v_mad_u64_u32 v[4:5], s[16:17], s31, v5, v[4:5]
	v_mov_b32_e32 v3, v4
	v_lshlrev_b64 v[2:3], 3, v[2:3]
	v_lshlrev_b64 v[4:5], 3, v[0:1]
	v_add_u32_e32 v1, 64, v0
	v_add_co_u32_e32 v22, vcc, v2, v4
	v_ashrrev_i32_e32 v2, 31, v1
	v_addc_co_u32_e32 v19, vcc, v3, v5, vcc
	v_mul_lo_u32 v6, s30, v2
	v_mul_lo_u32 v7, s31, v1
	v_mad_u64_u32 v[2:3], s[16:17], s30, v1, 0
	v_add3_u32 v3, v3, v6, v7
	v_lshlrev_b64 v[2:3], 3, v[2:3]
	v_add_co_u32_e32 v24, vcc, v2, v9
	v_or_b32_e32 v1, 2, v10
	v_addc_co_u32_e32 v21, vcc, 0, v3, vcc
	v_mad_u64_u32 v[2:3], s[16:17], s30, v1, 0
	v_mov_b32_e32 v6, v3
	v_mad_u64_u32 v[6:7], s[16:17], s31, v1, v[6:7]
	v_mov_b32_e32 v3, v6
	v_lshlrev_b64 v[2:3], 3, v[2:3]
	v_add_u32_e32 v1, 0x80, v0
	v_add_co_u32_e32 v26, vcc, v2, v4
	v_ashrrev_i32_e32 v2, 31, v1
	v_addc_co_u32_e32 v23, vcc, v3, v5, vcc
	v_mul_lo_u32 v6, s30, v2
	v_mul_lo_u32 v7, s31, v1
	v_mad_u64_u32 v[2:3], s[16:17], s30, v1, 0
	v_add3_u32 v3, v3, v6, v7
	v_lshlrev_b64 v[2:3], 3, v[2:3]
	v_add_co_u32_e32 v28, vcc, v2, v9
	v_addc_co_u32_e32 v25, vcc, 0, v3, vcc
	v_pk_mov_b32 v[2:3], s[30:31], s[30:31] op_sel:[0,1]
	v_mad_u64_u32 v[2:3], s[16:17], s30, v10, v[2:3]
	v_mov_b32_e32 v6, v3
	v_mad_u64_u32 v[6:7], s[16:17], s31, v10, v[6:7]
	v_mov_b32_e32 v3, v6
	v_lshlrev_b64 v[2:3], 3, v[2:3]
	v_add_u32_e32 v0, 0xc0, v0
	v_add_co_u32_e32 v30, vcc, v2, v4
	v_ashrrev_i32_e32 v1, 31, v0
	v_addc_co_u32_e32 v27, vcc, v3, v5, vcc
	v_mul_lo_u32 v2, s30, v1
	v_mul_lo_u32 v3, s31, v0
	v_mad_u64_u32 v[0:1], s[16:17], s30, v0, 0
	v_add3_u32 v1, v1, v2, v3
	v_lshlrev_b64 v[0:1], 3, v[0:1]
	v_add_co_u32_e32 v32, vcc, v0, v9
	v_addc_co_u32_e32 v29, vcc, 0, v1, vcc
	v_mad_u64_u32 v[0:1], s[16:17], s30, v8, 0
	v_mov_b32_e32 v2, v1
	v_mad_u64_u32 v[2:3], s[16:17], s31, v8, v[2:3]
	v_mov_b32_e32 v1, v2
	v_lshlrev_b64 v[0:1], 5, v[0:1]
	v_add_co_u32_e32 v34, vcc, v0, v4
	s_cmp_lg_u32 s24, 1
	v_addc_co_u32_e32 v31, vcc, v1, v5, vcc
	v_pk_mov_b32 v[0:1], s[8:9], s[8:9] op_sel:[0,1]
	s_cselect_b64 s[38:39], -1, 0
	v_cmp_gt_i32_e64 s[0:1], s25, v18
	v_cmp_gt_i32_e64 s[2:3], s25, v36
	s_lshl_b64 s[40:41], s[30:31], 9
	s_mov_b64 s[42:43], 0
	v_pk_mov_b32 v[2:3], s[10:11], s[10:11] op_sel:[0,1]
	v_pk_mov_b32 v[4:5], s[12:13], s[12:13] op_sel:[0,1]
	;; [unrolled: 1-line block ×3, first 2 shown]
	s_branch .LBB20_4
.LBB20_2:                               ;   in Loop: Header=BB20_4 Depth=1
	v_pk_mov_b32 v[0:1], v[8:9], v[8:9] op_sel:[0,1]
	v_pk_mov_b32 v[2:3], v[10:11], v[10:11] op_sel:[0,1]
	;; [unrolled: 1-line block ×4, first 2 shown]
.LBB20_3:                               ;   in Loop: Header=BB20_4 Depth=1
	s_or_b64 exec, exec, s[22:23]
	v_add_co_u32_e32 v20, vcc, 0x200, v20
	v_addc_co_u32_e32 v17, vcc, 0, v17, vcc
	v_mov_b32_e32 v8, s41
	v_add_co_u32_e32 v22, vcc, s40, v22
	v_addc_co_u32_e32 v19, vcc, v19, v8, vcc
	v_add_co_u32_e32 v24, vcc, 0x200, v24
	v_addc_co_u32_e32 v21, vcc, 0, v21, vcc
	;; [unrolled: 2-line block ×5, first 2 shown]
	v_add_co_u32_e32 v32, vcc, 0x200, v32
	v_add_u32_e32 v16, 64, v16
	v_addc_co_u32_e32 v29, vcc, 0, v29, vcc
	v_cmp_le_i32_e32 vcc, s33, v16
	s_or_b64 s[42:43], vcc, s[42:43]
	v_add_co_u32_e32 v34, vcc, s40, v34
	v_addc_co_u32_e32 v31, vcc, v31, v8, vcc
	s_andn2_b64 exec, exec, s[42:43]
	s_cbranch_execz .LBB20_27
.LBB20_4:                               ; =>This Inner Loop Header: Depth=1
	v_cndmask_b32_e64 v8, 0, 1, s[38:39]
	v_cmp_ne_u32_e64 s[8:9], 1, v8
	s_and_saveexec_b64 s[44:45], s[0:1]
	s_cbranch_execnz .LBB20_8
; %bb.5:                                ;   in Loop: Header=BB20_4 Depth=1
	s_or_b64 exec, exec, s[44:45]
	s_and_saveexec_b64 s[44:45], s[2:3]
	s_cbranch_execnz .LBB20_13
.LBB20_6:                               ;   in Loop: Header=BB20_4 Depth=1
	s_or_b64 exec, exec, s[44:45]
	s_and_saveexec_b64 s[44:45], s[4:5]
	s_cbranch_execnz .LBB20_18
.LBB20_7:                               ;   in Loop: Header=BB20_4 Depth=1
	s_or_b64 exec, exec, s[44:45]
	s_and_saveexec_b64 s[22:23], s[6:7]
	s_cbranch_execz .LBB20_3
	s_branch .LBB20_23
.LBB20_8:                               ;   in Loop: Header=BB20_4 Depth=1
	s_and_b64 vcc, exec, s[8:9]
	s_cbranch_vccnz .LBB20_10
; %bb.9:                                ;   in Loop: Header=BB20_4 Depth=1
	v_mov_b32_e32 v9, s29
	v_add_co_u32_e32 v8, vcc, s28, v20
	v_addc_co_u32_e32 v9, vcc, v9, v17, vcc
	global_load_dwordx4 v[38:41], v[8:9], off
	global_load_dwordx4 v[42:45], v[8:9], off offset:16
	v_add_co_u32_e32 v8, vcc, 1, v0
	v_addc_co_u32_e32 v9, vcc, 0, v1, vcc
	v_mov_b32_e32 v10, v2
	v_mov_b32_e32 v11, v3
	;; [unrolled: 1-line block ×6, first 2 shown]
	s_waitcnt vmcnt(1)
	v_cmp_neq_f32_e32 vcc, 0, v38
	v_cmp_neq_f32_e64 s[10:11], 0, v39
	s_or_b64 vcc, vcc, s[10:11]
	v_cndmask_b32_e32 v8, v0, v8, vcc
	v_cndmask_b32_e32 v9, v1, v9, vcc
	v_add_co_u32_e32 v37, vcc, 1, v8
	v_cmp_neq_f32_e64 s[12:13], 0, v40
	v_cmp_neq_f32_e64 s[14:15], 0, v41
	v_addc_co_u32_e32 v38, vcc, 0, v9, vcc
	s_or_b64 vcc, s[12:13], s[14:15]
	v_cndmask_b32_e32 v8, v8, v37, vcc
	v_cndmask_b32_e32 v9, v9, v38, vcc
	v_add_co_u32_e32 v37, vcc, 1, v8
	s_waitcnt vmcnt(0)
	v_cmp_neq_f32_e64 s[16:17], 0, v42
	v_cmp_neq_f32_e64 s[18:19], 0, v43
	v_addc_co_u32_e32 v38, vcc, 0, v9, vcc
	s_or_b64 vcc, s[16:17], s[18:19]
	v_cndmask_b32_e32 v8, v8, v37, vcc
	v_cndmask_b32_e32 v9, v9, v38, vcc
	v_add_co_u32_e32 v37, vcc, 1, v8
	v_cmp_neq_f32_e64 s[20:21], 0, v44
	v_cmp_neq_f32_e64 s[22:23], 0, v45
	v_addc_co_u32_e32 v38, vcc, 0, v9, vcc
	s_or_b64 vcc, s[20:21], s[22:23]
	v_cndmask_b32_e32 v9, v9, v38, vcc
	v_cndmask_b32_e32 v8, v8, v37, vcc
	s_cbranch_execz .LBB20_11
	s_branch .LBB20_12
.LBB20_10:                              ;   in Loop: Header=BB20_4 Depth=1
                                        ; implicit-def: $vgpr8_vgpr9_vgpr10_vgpr11_vgpr12_vgpr13_vgpr14_vgpr15
.LBB20_11:                              ;   in Loop: Header=BB20_4 Depth=1
	v_mov_b32_e32 v37, s29
	v_add_co_u32_e32 v8, vcc, s28, v34
	v_addc_co_u32_e32 v9, vcc, v37, v31, vcc
	v_add_co_u32_e32 v10, vcc, s28, v30
	v_addc_co_u32_e32 v11, vcc, v37, v27, vcc
	;; [unrolled: 2-line block ×3, first 2 shown]
	global_load_dwordx2 v[14:15], v[8:9], off
	global_load_dwordx2 v[38:39], v[10:11], off
	;; [unrolled: 1-line block ×3, first 2 shown]
	v_add_co_u32_e32 v8, vcc, s28, v22
	v_addc_co_u32_e32 v9, vcc, v37, v19, vcc
	global_load_dwordx2 v[8:9], v[8:9], off
	v_add_co_u32_e32 v10, vcc, 1, v0
	v_addc_co_u32_e32 v11, vcc, 0, v1, vcc
	s_waitcnt vmcnt(3)
	v_cmp_neq_f32_e32 vcc, 0, v14
	v_cmp_neq_f32_e64 s[10:11], 0, v15
	s_or_b64 vcc, vcc, s[10:11]
	v_cndmask_b32_e32 v0, v0, v10, vcc
	v_cndmask_b32_e32 v1, v1, v11, vcc
	s_waitcnt vmcnt(2)
	v_cmp_neq_f32_e64 s[12:13], 0, v38
	v_cmp_neq_f32_e64 s[14:15], 0, v39
	s_waitcnt vmcnt(0)
	v_cmp_neq_f32_e64 s[20:21], 0, v8
	v_add_co_u32_e32 v8, vcc, 1, v0
	v_cmp_neq_f32_e64 s[22:23], 0, v9
	v_addc_co_u32_e32 v9, vcc, 0, v1, vcc
	s_or_b64 vcc, s[12:13], s[14:15]
	v_cndmask_b32_e32 v0, v0, v8, vcc
	v_cndmask_b32_e32 v1, v1, v9, vcc
	v_add_co_u32_e32 v8, vcc, 1, v0
	v_cmp_neq_f32_e64 s[16:17], 0, v40
	v_cmp_neq_f32_e64 s[18:19], 0, v41
	v_addc_co_u32_e32 v9, vcc, 0, v1, vcc
	s_or_b64 vcc, s[16:17], s[18:19]
	v_cndmask_b32_e32 v0, v0, v8, vcc
	v_cndmask_b32_e32 v1, v1, v9, vcc
	v_add_co_u32_e32 v8, vcc, 1, v0
	v_addc_co_u32_e32 v9, vcc, 0, v1, vcc
	s_or_b64 vcc, s[20:21], s[22:23]
	v_cndmask_b32_e32 v1, v1, v9, vcc
	v_cndmask_b32_e32 v0, v0, v8, vcc
	v_pk_mov_b32 v[14:15], v[6:7], v[6:7] op_sel:[0,1]
	v_pk_mov_b32 v[12:13], v[4:5], v[4:5] op_sel:[0,1]
	;; [unrolled: 1-line block ×4, first 2 shown]
.LBB20_12:                              ;   in Loop: Header=BB20_4 Depth=1
	v_pk_mov_b32 v[0:1], v[8:9], v[8:9] op_sel:[0,1]
	v_pk_mov_b32 v[2:3], v[10:11], v[10:11] op_sel:[0,1]
	;; [unrolled: 1-line block ×4, first 2 shown]
	s_or_b64 exec, exec, s[44:45]
	s_and_saveexec_b64 s[44:45], s[2:3]
	s_cbranch_execz .LBB20_6
.LBB20_13:                              ;   in Loop: Header=BB20_4 Depth=1
	s_and_b64 vcc, exec, s[8:9]
	s_cbranch_vccnz .LBB20_15
; %bb.14:                               ;   in Loop: Header=BB20_4 Depth=1
	v_mov_b32_e32 v9, s29
	v_add_co_u32_e32 v8, vcc, s28, v24
	v_addc_co_u32_e32 v9, vcc, v9, v21, vcc
	global_load_dwordx4 v[38:41], v[8:9], off
	global_load_dwordx4 v[42:45], v[8:9], off offset:16
	v_add_co_u32_e32 v10, vcc, 1, v2
	v_addc_co_u32_e32 v11, vcc, 0, v3, vcc
	v_mov_b32_e32 v8, v0
	v_mov_b32_e32 v9, v1
	;; [unrolled: 1-line block ×6, first 2 shown]
	s_waitcnt vmcnt(1)
	v_cmp_neq_f32_e32 vcc, 0, v38
	v_cmp_neq_f32_e64 s[10:11], 0, v39
	s_or_b64 vcc, vcc, s[10:11]
	v_cndmask_b32_e32 v10, v2, v10, vcc
	v_cndmask_b32_e32 v11, v3, v11, vcc
	v_add_co_u32_e32 v37, vcc, 1, v10
	v_cmp_neq_f32_e64 s[12:13], 0, v40
	v_cmp_neq_f32_e64 s[14:15], 0, v41
	v_addc_co_u32_e32 v38, vcc, 0, v11, vcc
	s_or_b64 vcc, s[12:13], s[14:15]
	v_cndmask_b32_e32 v10, v10, v37, vcc
	v_cndmask_b32_e32 v11, v11, v38, vcc
	v_add_co_u32_e32 v37, vcc, 1, v10
	s_waitcnt vmcnt(0)
	v_cmp_neq_f32_e64 s[16:17], 0, v42
	v_cmp_neq_f32_e64 s[18:19], 0, v43
	v_addc_co_u32_e32 v38, vcc, 0, v11, vcc
	s_or_b64 vcc, s[16:17], s[18:19]
	v_cndmask_b32_e32 v10, v10, v37, vcc
	v_cndmask_b32_e32 v11, v11, v38, vcc
	v_add_co_u32_e32 v37, vcc, 1, v10
	v_cmp_neq_f32_e64 s[20:21], 0, v44
	v_cmp_neq_f32_e64 s[22:23], 0, v45
	v_addc_co_u32_e32 v38, vcc, 0, v11, vcc
	s_or_b64 vcc, s[20:21], s[22:23]
	v_cndmask_b32_e32 v11, v11, v38, vcc
	v_cndmask_b32_e32 v10, v10, v37, vcc
	s_cbranch_execz .LBB20_16
	s_branch .LBB20_17
.LBB20_15:                              ;   in Loop: Header=BB20_4 Depth=1
                                        ; implicit-def: $vgpr8_vgpr9_vgpr10_vgpr11_vgpr12_vgpr13_vgpr14_vgpr15
.LBB20_16:                              ;   in Loop: Header=BB20_4 Depth=1
	v_mov_b32_e32 v37, s29
	v_add_co_u32_e32 v8, vcc, s28, v34
	v_addc_co_u32_e32 v9, vcc, v37, v31, vcc
	v_add_co_u32_e32 v10, vcc, s28, v30
	v_addc_co_u32_e32 v11, vcc, v37, v27, vcc
	;; [unrolled: 2-line block ×3, first 2 shown]
	global_load_dwordx2 v[14:15], v[8:9], off offset:512
	global_load_dwordx2 v[38:39], v[10:11], off offset:512
	;; [unrolled: 1-line block ×3, first 2 shown]
	v_add_co_u32_e32 v8, vcc, s28, v22
	v_addc_co_u32_e32 v9, vcc, v37, v19, vcc
	global_load_dwordx2 v[8:9], v[8:9], off offset:512
	v_add_co_u32_e32 v10, vcc, 1, v2
	v_addc_co_u32_e32 v11, vcc, 0, v3, vcc
	s_waitcnt vmcnt(3)
	v_cmp_neq_f32_e32 vcc, 0, v14
	v_cmp_neq_f32_e64 s[10:11], 0, v15
	s_or_b64 vcc, vcc, s[10:11]
	v_cndmask_b32_e32 v2, v2, v10, vcc
	v_cndmask_b32_e32 v3, v3, v11, vcc
	s_waitcnt vmcnt(2)
	v_cmp_neq_f32_e64 s[12:13], 0, v38
	v_cmp_neq_f32_e64 s[14:15], 0, v39
	s_waitcnt vmcnt(0)
	v_cmp_neq_f32_e64 s[20:21], 0, v8
	v_add_co_u32_e32 v8, vcc, 1, v2
	v_cmp_neq_f32_e64 s[22:23], 0, v9
	v_addc_co_u32_e32 v9, vcc, 0, v3, vcc
	s_or_b64 vcc, s[12:13], s[14:15]
	v_cndmask_b32_e32 v2, v2, v8, vcc
	v_cndmask_b32_e32 v3, v3, v9, vcc
	v_add_co_u32_e32 v8, vcc, 1, v2
	v_cmp_neq_f32_e64 s[16:17], 0, v40
	v_cmp_neq_f32_e64 s[18:19], 0, v41
	v_addc_co_u32_e32 v9, vcc, 0, v3, vcc
	s_or_b64 vcc, s[16:17], s[18:19]
	v_cndmask_b32_e32 v2, v2, v8, vcc
	v_cndmask_b32_e32 v3, v3, v9, vcc
	v_add_co_u32_e32 v8, vcc, 1, v2
	v_addc_co_u32_e32 v9, vcc, 0, v3, vcc
	s_or_b64 vcc, s[20:21], s[22:23]
	v_cndmask_b32_e32 v3, v3, v9, vcc
	v_cndmask_b32_e32 v2, v2, v8, vcc
	v_pk_mov_b32 v[14:15], v[6:7], v[6:7] op_sel:[0,1]
	v_pk_mov_b32 v[12:13], v[4:5], v[4:5] op_sel:[0,1]
	;; [unrolled: 1-line block ×4, first 2 shown]
.LBB20_17:                              ;   in Loop: Header=BB20_4 Depth=1
	v_pk_mov_b32 v[0:1], v[8:9], v[8:9] op_sel:[0,1]
	v_pk_mov_b32 v[2:3], v[10:11], v[10:11] op_sel:[0,1]
	;; [unrolled: 1-line block ×4, first 2 shown]
	s_or_b64 exec, exec, s[44:45]
	s_and_saveexec_b64 s[44:45], s[4:5]
	s_cbranch_execz .LBB20_7
.LBB20_18:                              ;   in Loop: Header=BB20_4 Depth=1
	s_and_b64 vcc, exec, s[8:9]
	s_cbranch_vccnz .LBB20_20
; %bb.19:                               ;   in Loop: Header=BB20_4 Depth=1
	v_mov_b32_e32 v9, s29
	v_add_co_u32_e32 v8, vcc, s28, v28
	v_addc_co_u32_e32 v9, vcc, v9, v25, vcc
	global_load_dwordx4 v[38:41], v[8:9], off
	global_load_dwordx4 v[42:45], v[8:9], off offset:16
	v_add_co_u32_e32 v12, vcc, 1, v4
	v_addc_co_u32_e32 v13, vcc, 0, v5, vcc
	v_mov_b32_e32 v8, v0
	v_mov_b32_e32 v9, v1
	;; [unrolled: 1-line block ×6, first 2 shown]
	s_waitcnt vmcnt(1)
	v_cmp_neq_f32_e32 vcc, 0, v38
	v_cmp_neq_f32_e64 s[10:11], 0, v39
	s_or_b64 vcc, vcc, s[10:11]
	v_cndmask_b32_e32 v12, v4, v12, vcc
	v_cndmask_b32_e32 v13, v5, v13, vcc
	v_add_co_u32_e32 v37, vcc, 1, v12
	v_cmp_neq_f32_e64 s[12:13], 0, v40
	v_cmp_neq_f32_e64 s[14:15], 0, v41
	v_addc_co_u32_e32 v38, vcc, 0, v13, vcc
	s_or_b64 vcc, s[12:13], s[14:15]
	v_cndmask_b32_e32 v12, v12, v37, vcc
	v_cndmask_b32_e32 v13, v13, v38, vcc
	v_add_co_u32_e32 v37, vcc, 1, v12
	s_waitcnt vmcnt(0)
	v_cmp_neq_f32_e64 s[16:17], 0, v42
	v_cmp_neq_f32_e64 s[18:19], 0, v43
	v_addc_co_u32_e32 v38, vcc, 0, v13, vcc
	s_or_b64 vcc, s[16:17], s[18:19]
	v_cndmask_b32_e32 v12, v12, v37, vcc
	v_cndmask_b32_e32 v13, v13, v38, vcc
	v_add_co_u32_e32 v37, vcc, 1, v12
	v_cmp_neq_f32_e64 s[20:21], 0, v44
	v_cmp_neq_f32_e64 s[22:23], 0, v45
	v_addc_co_u32_e32 v38, vcc, 0, v13, vcc
	s_or_b64 vcc, s[20:21], s[22:23]
	v_cndmask_b32_e32 v13, v13, v38, vcc
	v_cndmask_b32_e32 v12, v12, v37, vcc
	s_cbranch_execz .LBB20_21
	s_branch .LBB20_22
.LBB20_20:                              ;   in Loop: Header=BB20_4 Depth=1
                                        ; implicit-def: $vgpr8_vgpr9_vgpr10_vgpr11_vgpr12_vgpr13_vgpr14_vgpr15
.LBB20_21:                              ;   in Loop: Header=BB20_4 Depth=1
	v_mov_b32_e32 v37, s29
	v_add_co_u32_e32 v8, vcc, s28, v34
	v_addc_co_u32_e32 v9, vcc, v37, v31, vcc
	v_add_co_u32_e32 v10, vcc, s28, v30
	v_addc_co_u32_e32 v11, vcc, v37, v27, vcc
	;; [unrolled: 2-line block ×3, first 2 shown]
	global_load_dwordx2 v[14:15], v[8:9], off offset:1024
	global_load_dwordx2 v[38:39], v[10:11], off offset:1024
	;; [unrolled: 1-line block ×3, first 2 shown]
	v_add_co_u32_e32 v8, vcc, s28, v22
	v_addc_co_u32_e32 v9, vcc, v37, v19, vcc
	global_load_dwordx2 v[8:9], v[8:9], off offset:1024
	v_add_co_u32_e32 v10, vcc, 1, v4
	v_addc_co_u32_e32 v11, vcc, 0, v5, vcc
	s_waitcnt vmcnt(3)
	v_cmp_neq_f32_e32 vcc, 0, v14
	v_cmp_neq_f32_e64 s[10:11], 0, v15
	s_or_b64 vcc, vcc, s[10:11]
	v_cndmask_b32_e32 v4, v4, v10, vcc
	v_cndmask_b32_e32 v5, v5, v11, vcc
	s_waitcnt vmcnt(2)
	v_cmp_neq_f32_e64 s[12:13], 0, v38
	v_cmp_neq_f32_e64 s[14:15], 0, v39
	s_waitcnt vmcnt(0)
	v_cmp_neq_f32_e64 s[20:21], 0, v8
	v_add_co_u32_e32 v8, vcc, 1, v4
	v_cmp_neq_f32_e64 s[22:23], 0, v9
	v_addc_co_u32_e32 v9, vcc, 0, v5, vcc
	s_or_b64 vcc, s[12:13], s[14:15]
	v_cndmask_b32_e32 v4, v4, v8, vcc
	v_cndmask_b32_e32 v5, v5, v9, vcc
	v_add_co_u32_e32 v8, vcc, 1, v4
	v_cmp_neq_f32_e64 s[16:17], 0, v40
	v_cmp_neq_f32_e64 s[18:19], 0, v41
	v_addc_co_u32_e32 v9, vcc, 0, v5, vcc
	s_or_b64 vcc, s[16:17], s[18:19]
	v_cndmask_b32_e32 v4, v4, v8, vcc
	v_cndmask_b32_e32 v5, v5, v9, vcc
	v_add_co_u32_e32 v8, vcc, 1, v4
	v_addc_co_u32_e32 v9, vcc, 0, v5, vcc
	s_or_b64 vcc, s[20:21], s[22:23]
	v_cndmask_b32_e32 v5, v5, v9, vcc
	v_cndmask_b32_e32 v4, v4, v8, vcc
	v_pk_mov_b32 v[14:15], v[6:7], v[6:7] op_sel:[0,1]
	v_pk_mov_b32 v[12:13], v[4:5], v[4:5] op_sel:[0,1]
	;; [unrolled: 1-line block ×4, first 2 shown]
.LBB20_22:                              ;   in Loop: Header=BB20_4 Depth=1
	v_pk_mov_b32 v[0:1], v[8:9], v[8:9] op_sel:[0,1]
	v_pk_mov_b32 v[2:3], v[10:11], v[10:11] op_sel:[0,1]
	;; [unrolled: 1-line block ×4, first 2 shown]
	s_or_b64 exec, exec, s[44:45]
	s_and_saveexec_b64 s[22:23], s[6:7]
	s_cbranch_execz .LBB20_3
.LBB20_23:                              ;   in Loop: Header=BB20_4 Depth=1
	s_and_b64 vcc, exec, s[8:9]
	s_cbranch_vccnz .LBB20_25
; %bb.24:                               ;   in Loop: Header=BB20_4 Depth=1
	v_mov_b32_e32 v9, s29
	v_add_co_u32_e32 v8, vcc, s28, v32
	v_addc_co_u32_e32 v9, vcc, v9, v29, vcc
	global_load_dwordx4 v[38:41], v[8:9], off
	global_load_dwordx4 v[42:45], v[8:9], off offset:16
	v_add_co_u32_e32 v14, vcc, 1, v6
	v_addc_co_u32_e32 v15, vcc, 0, v7, vcc
	v_mov_b32_e32 v8, v0
	v_mov_b32_e32 v9, v1
	;; [unrolled: 1-line block ×6, first 2 shown]
	s_waitcnt vmcnt(1)
	v_cmp_neq_f32_e32 vcc, 0, v38
	v_cmp_neq_f32_e64 s[8:9], 0, v39
	s_or_b64 vcc, vcc, s[8:9]
	v_cndmask_b32_e32 v14, v6, v14, vcc
	v_cndmask_b32_e32 v15, v7, v15, vcc
	v_add_co_u32_e32 v37, vcc, 1, v14
	v_cmp_neq_f32_e64 s[10:11], 0, v40
	v_cmp_neq_f32_e64 s[12:13], 0, v41
	v_addc_co_u32_e32 v38, vcc, 0, v15, vcc
	s_or_b64 vcc, s[10:11], s[12:13]
	v_cndmask_b32_e32 v14, v14, v37, vcc
	v_cndmask_b32_e32 v15, v15, v38, vcc
	v_add_co_u32_e32 v37, vcc, 1, v14
	s_waitcnt vmcnt(0)
	v_cmp_neq_f32_e64 s[14:15], 0, v42
	v_cmp_neq_f32_e64 s[16:17], 0, v43
	v_addc_co_u32_e32 v38, vcc, 0, v15, vcc
	s_or_b64 vcc, s[14:15], s[16:17]
	v_cndmask_b32_e32 v14, v14, v37, vcc
	v_cndmask_b32_e32 v15, v15, v38, vcc
	v_add_co_u32_e32 v37, vcc, 1, v14
	v_cmp_neq_f32_e64 s[18:19], 0, v44
	v_cmp_neq_f32_e64 s[20:21], 0, v45
	v_addc_co_u32_e32 v38, vcc, 0, v15, vcc
	s_or_b64 vcc, s[18:19], s[20:21]
	v_cndmask_b32_e32 v15, v15, v38, vcc
	v_cndmask_b32_e32 v14, v14, v37, vcc
	s_cbranch_execnz .LBB20_2
	s_branch .LBB20_26
.LBB20_25:                              ;   in Loop: Header=BB20_4 Depth=1
                                        ; implicit-def: $vgpr8_vgpr9_vgpr10_vgpr11_vgpr12_vgpr13_vgpr14_vgpr15
.LBB20_26:                              ;   in Loop: Header=BB20_4 Depth=1
	v_mov_b32_e32 v37, s29
	v_add_co_u32_e32 v8, vcc, s28, v34
	v_addc_co_u32_e32 v9, vcc, v37, v31, vcc
	v_add_co_u32_e32 v10, vcc, s28, v30
	v_addc_co_u32_e32 v11, vcc, v37, v27, vcc
	;; [unrolled: 2-line block ×3, first 2 shown]
	global_load_dwordx2 v[14:15], v[8:9], off offset:1536
	global_load_dwordx2 v[38:39], v[10:11], off offset:1536
	;; [unrolled: 1-line block ×3, first 2 shown]
	v_add_co_u32_e32 v8, vcc, s28, v22
	v_addc_co_u32_e32 v9, vcc, v37, v19, vcc
	global_load_dwordx2 v[8:9], v[8:9], off offset:1536
	v_add_co_u32_e32 v10, vcc, 1, v6
	v_addc_co_u32_e32 v11, vcc, 0, v7, vcc
	s_waitcnt vmcnt(3)
	v_cmp_neq_f32_e32 vcc, 0, v14
	v_cmp_neq_f32_e64 s[8:9], 0, v15
	s_or_b64 vcc, vcc, s[8:9]
	v_cndmask_b32_e32 v6, v6, v10, vcc
	v_cndmask_b32_e32 v7, v7, v11, vcc
	s_waitcnt vmcnt(2)
	v_cmp_neq_f32_e64 s[10:11], 0, v38
	v_cmp_neq_f32_e64 s[12:13], 0, v39
	s_waitcnt vmcnt(0)
	v_cmp_neq_f32_e64 s[18:19], 0, v8
	v_add_co_u32_e32 v8, vcc, 1, v6
	v_cmp_neq_f32_e64 s[20:21], 0, v9
	v_addc_co_u32_e32 v9, vcc, 0, v7, vcc
	s_or_b64 vcc, s[10:11], s[12:13]
	v_cndmask_b32_e32 v6, v6, v8, vcc
	v_cndmask_b32_e32 v7, v7, v9, vcc
	v_add_co_u32_e32 v8, vcc, 1, v6
	v_cmp_neq_f32_e64 s[14:15], 0, v40
	v_cmp_neq_f32_e64 s[16:17], 0, v41
	v_addc_co_u32_e32 v9, vcc, 0, v7, vcc
	s_or_b64 vcc, s[14:15], s[16:17]
	v_cndmask_b32_e32 v6, v6, v8, vcc
	v_cndmask_b32_e32 v7, v7, v9, vcc
	v_add_co_u32_e32 v8, vcc, 1, v6
	v_addc_co_u32_e32 v9, vcc, 0, v7, vcc
	s_or_b64 vcc, s[18:19], s[20:21]
	v_cndmask_b32_e32 v7, v7, v9, vcc
	v_cndmask_b32_e32 v6, v6, v8, vcc
	v_pk_mov_b32 v[14:15], v[6:7], v[6:7] op_sel:[0,1]
	v_pk_mov_b32 v[12:13], v[4:5], v[4:5] op_sel:[0,1]
	;; [unrolled: 1-line block ×4, first 2 shown]
	s_branch .LBB20_2
.LBB20_27:
	s_or_b64 exec, exec, s[42:43]
.LBB20_28:
	s_or_b64 exec, exec, s[36:37]
	s_sub_i32 s0, s26, s33
	s_cmp_lt_i32 s0, 1
	s_cbranch_scc1 .LBB20_126
; %bb.29:
	v_mov_b32_e32 v17, 0
	v_lshlrev_b64 v[8:9], 3, v[16:17]
	s_cmp_eq_u32 s24, 1
	v_mov_b32_e32 v10, s29
	v_add_co_u32_e32 v14, vcc, s28, v8
	s_cselect_b64 s[4:5], -1, 0
	s_cmp_lg_u32 s24, 1
	v_addc_co_u32_e32 v15, vcc, v10, v9, vcc
	s_cselect_b64 s[2:3], -1, 0
	v_cmp_gt_i32_e32 vcc, s25, v18
	v_ashrrev_i32_e32 v19, 31, v18
	s_and_saveexec_b64 s[6:7], vcc
	s_cbranch_execz .LBB20_53
; %bb.30:
	v_mul_lo_u32 v10, v18, s31
	v_mul_lo_u32 v11, v19, s30
	v_mad_u64_u32 v[8:9], s[0:1], v18, s30, 0
	v_add3_u32 v9, v9, v10, v11
	v_lshlrev_b64 v[8:9], 3, v[8:9]
	v_add_co_u32_e32 v8, vcc, v14, v8
	v_addc_co_u32_e32 v9, vcc, v15, v9, vcc
	v_lshlrev_b64 v[10:11], 3, v[18:19]
	v_mov_b32_e32 v12, s29
	v_add_co_u32_e32 v17, vcc, s28, v10
	v_addc_co_u32_e32 v20, vcc, v12, v11, vcc
	v_cmp_gt_i32_e32 vcc, s26, v16
	s_and_saveexec_b64 s[8:9], vcc
	s_cbranch_execz .LBB20_34
; %bb.31:
	s_andn2_b64 vcc, exec, s[4:5]
	v_pk_mov_b32 v[10:11], v[8:9], v[8:9] op_sel:[0,1]
	s_cbranch_vccnz .LBB20_33
; %bb.32:
	v_mad_u64_u32 v[10:11], s[0:1], v16, s30, 0
	v_mov_b32_e32 v12, v11
	v_mad_u64_u32 v[12:13], s[0:1], v16, s31, v[12:13]
	v_mov_b32_e32 v11, v12
	v_lshlrev_b64 v[10:11], 3, v[10:11]
	v_add_co_u32_e32 v10, vcc, v17, v10
	v_addc_co_u32_e32 v11, vcc, v20, v11, vcc
.LBB20_33:
	global_load_dwordx2 v[10:11], v[10:11], off
	s_waitcnt vmcnt(0)
	v_cmp_neq_f32_e32 vcc, 0, v10
	v_cmp_neq_f32_e64 s[0:1], 0, v11
	s_or_b64 s[0:1], vcc, s[0:1]
	v_cndmask_b32_e64 v10, 0, 1, s[0:1]
	v_add_co_u32_e32 v0, vcc, v0, v10
	v_addc_co_u32_e32 v1, vcc, 0, v1, vcc
.LBB20_34:
	s_or_b64 exec, exec, s[8:9]
	v_or_b32_e32 v21, 1, v16
	v_cmp_gt_i32_e32 vcc, s26, v21
	s_and_saveexec_b64 s[8:9], vcc
	s_cbranch_execz .LBB20_40
; %bb.35:
	s_andn2_b64 vcc, exec, s[2:3]
	s_cbranch_vccnz .LBB20_37
; %bb.36:
	v_add_co_u32_e32 v10, vcc, 8, v8
	v_addc_co_u32_e32 v11, vcc, 0, v9, vcc
	v_add_co_u32_e32 v12, vcc, 12, v8
	v_addc_co_u32_e32 v13, vcc, 0, v9, vcc
	s_cbranch_execz .LBB20_38
	s_branch .LBB20_39
.LBB20_37:
                                        ; implicit-def: $vgpr10_vgpr11
                                        ; implicit-def: $vgpr12_vgpr13
.LBB20_38:
	v_mad_u64_u32 v[10:11], s[0:1], v21, s30, 0
	v_mov_b32_e32 v12, v11
	v_mad_u64_u32 v[12:13], s[0:1], v21, s31, v[12:13]
	v_mov_b32_e32 v11, v12
	v_lshlrev_b64 v[10:11], 3, v[10:11]
	v_add_co_u32_e32 v10, vcc, v17, v10
	v_addc_co_u32_e32 v11, vcc, v20, v11, vcc
	v_add_co_u32_e32 v12, vcc, 4, v10
	v_addc_co_u32_e32 v13, vcc, 0, v11, vcc
.LBB20_39:
	global_load_dword v21, v[10:11], off
	global_load_dword v22, v[12:13], off
	s_waitcnt vmcnt(1)
	v_cmp_neq_f32_e32 vcc, 0, v21
	s_waitcnt vmcnt(0)
	v_cmp_neq_f32_e64 s[0:1], 0, v22
	s_or_b64 s[0:1], vcc, s[0:1]
	v_cndmask_b32_e64 v10, 0, 1, s[0:1]
	v_add_co_u32_e32 v0, vcc, v0, v10
	v_addc_co_u32_e32 v1, vcc, 0, v1, vcc
.LBB20_40:
	s_or_b64 exec, exec, s[8:9]
	v_or_b32_e32 v21, 2, v16
	v_cmp_gt_i32_e32 vcc, s26, v21
	s_and_saveexec_b64 s[8:9], vcc
	s_cbranch_execz .LBB20_46
; %bb.41:
	s_andn2_b64 vcc, exec, s[2:3]
	s_cbranch_vccnz .LBB20_43
; %bb.42:
	v_add_co_u32_e32 v10, vcc, 16, v8
	v_addc_co_u32_e32 v11, vcc, 0, v9, vcc
	v_add_co_u32_e32 v12, vcc, 20, v8
	v_addc_co_u32_e32 v13, vcc, 0, v9, vcc
	s_cbranch_execz .LBB20_44
	s_branch .LBB20_45
.LBB20_43:
                                        ; implicit-def: $vgpr10_vgpr11
                                        ; implicit-def: $vgpr12_vgpr13
.LBB20_44:
	v_mad_u64_u32 v[10:11], s[0:1], v21, s30, 0
	v_mov_b32_e32 v12, v11
	v_mad_u64_u32 v[12:13], s[0:1], v21, s31, v[12:13]
	v_mov_b32_e32 v11, v12
	v_lshlrev_b64 v[10:11], 3, v[10:11]
	v_add_co_u32_e32 v10, vcc, v17, v10
	v_addc_co_u32_e32 v11, vcc, v20, v11, vcc
	v_add_co_u32_e32 v12, vcc, 4, v10
	v_addc_co_u32_e32 v13, vcc, 0, v11, vcc
.LBB20_45:
	global_load_dword v21, v[10:11], off
	global_load_dword v22, v[12:13], off
	s_waitcnt vmcnt(1)
	v_cmp_neq_f32_e32 vcc, 0, v21
	s_waitcnt vmcnt(0)
	v_cmp_neq_f32_e64 s[0:1], 0, v22
	s_or_b64 s[0:1], vcc, s[0:1]
	v_cndmask_b32_e64 v10, 0, 1, s[0:1]
	v_add_co_u32_e32 v0, vcc, v0, v10
	v_addc_co_u32_e32 v1, vcc, 0, v1, vcc
.LBB20_46:
	s_or_b64 exec, exec, s[8:9]
	v_or_b32_e32 v12, 3, v16
	v_cmp_gt_i32_e32 vcc, s26, v12
	s_and_saveexec_b64 s[8:9], vcc
	s_cbranch_execz .LBB20_52
; %bb.47:
	s_andn2_b64 vcc, exec, s[2:3]
	s_cbranch_vccnz .LBB20_49
; %bb.48:
	v_add_co_u32_e32 v10, vcc, 24, v8
	v_addc_co_u32_e32 v11, vcc, 0, v9, vcc
	v_add_co_u32_e32 v8, vcc, 28, v8
	v_addc_co_u32_e32 v9, vcc, 0, v9, vcc
	s_cbranch_execz .LBB20_50
	s_branch .LBB20_51
.LBB20_49:
                                        ; implicit-def: $vgpr10_vgpr11
                                        ; implicit-def: $vgpr8_vgpr9
.LBB20_50:
	v_mad_u64_u32 v[8:9], s[0:1], v12, s30, 0
	v_mov_b32_e32 v10, v9
	v_mad_u64_u32 v[10:11], s[0:1], v12, s31, v[10:11]
	v_mov_b32_e32 v9, v10
	v_lshlrev_b64 v[8:9], 3, v[8:9]
	v_add_co_u32_e32 v10, vcc, v17, v8
	v_addc_co_u32_e32 v11, vcc, v20, v9, vcc
	v_add_co_u32_e32 v8, vcc, 4, v10
	v_addc_co_u32_e32 v9, vcc, 0, v11, vcc
.LBB20_51:
	global_load_dword v12, v[10:11], off
	global_load_dword v13, v[8:9], off
	s_waitcnt vmcnt(1)
	v_cmp_neq_f32_e32 vcc, 0, v12
	s_waitcnt vmcnt(0)
	v_cmp_neq_f32_e64 s[0:1], 0, v13
	s_or_b64 s[0:1], vcc, s[0:1]
	v_cndmask_b32_e64 v8, 0, 1, s[0:1]
	v_add_co_u32_e32 v0, vcc, v0, v8
	v_addc_co_u32_e32 v1, vcc, 0, v1, vcc
.LBB20_52:
	s_or_b64 exec, exec, s[8:9]
.LBB20_53:
	s_or_b64 exec, exec, s[6:7]
	v_cmp_gt_i32_e32 vcc, s25, v36
	s_and_saveexec_b64 s[6:7], vcc
	s_cbranch_execz .LBB20_77
; %bb.54:
	v_ashrrev_i32_e32 v8, 31, v36
	v_mul_lo_u32 v10, v36, s31
	v_mul_lo_u32 v11, v8, s30
	v_mad_u64_u32 v[8:9], s[0:1], v36, s30, 0
	v_add3_u32 v9, v9, v10, v11
	v_lshlrev_b64 v[8:9], 3, v[8:9]
	v_add_co_u32_e32 v8, vcc, v14, v8
	v_addc_co_u32_e32 v9, vcc, v15, v9, vcc
	v_lshlrev_b64 v[10:11], 3, v[18:19]
	v_mov_b32_e32 v12, s29
	v_add_co_u32_e32 v17, vcc, s28, v10
	v_addc_co_u32_e32 v20, vcc, v12, v11, vcc
	v_cmp_gt_i32_e32 vcc, s26, v16
	s_and_saveexec_b64 s[8:9], vcc
	s_cbranch_execz .LBB20_58
; %bb.55:
	s_andn2_b64 vcc, exec, s[4:5]
	v_pk_mov_b32 v[10:11], v[8:9], v[8:9] op_sel:[0,1]
	s_cbranch_vccnz .LBB20_57
; %bb.56:
	v_mad_u64_u32 v[10:11], s[0:1], v16, s30, 0
	v_mov_b32_e32 v12, v11
	v_mad_u64_u32 v[12:13], s[0:1], v16, s31, v[12:13]
	v_mov_b32_e32 v11, v12
	v_lshlrev_b64 v[10:11], 3, v[10:11]
	v_add_co_u32_e32 v10, vcc, v17, v10
	v_addc_co_u32_e32 v11, vcc, v20, v11, vcc
	v_add_co_u32_e32 v10, vcc, 0x200, v10
	v_addc_co_u32_e32 v11, vcc, 0, v11, vcc
.LBB20_57:
	global_load_dwordx2 v[10:11], v[10:11], off
	s_waitcnt vmcnt(0)
	v_cmp_neq_f32_e32 vcc, 0, v10
	v_cmp_neq_f32_e64 s[0:1], 0, v11
	s_or_b64 s[0:1], vcc, s[0:1]
	v_cndmask_b32_e64 v10, 0, 1, s[0:1]
	v_add_co_u32_e32 v2, vcc, v2, v10
	v_addc_co_u32_e32 v3, vcc, 0, v3, vcc
.LBB20_58:
	s_or_b64 exec, exec, s[8:9]
	v_or_b32_e32 v21, 1, v16
	v_cmp_gt_i32_e32 vcc, s26, v21
	s_and_saveexec_b64 s[8:9], vcc
	s_cbranch_execz .LBB20_64
; %bb.59:
	s_andn2_b64 vcc, exec, s[2:3]
	s_cbranch_vccnz .LBB20_61
; %bb.60:
	v_add_co_u32_e32 v10, vcc, 8, v8
	v_addc_co_u32_e32 v11, vcc, 0, v9, vcc
	v_add_co_u32_e32 v12, vcc, 12, v8
	v_addc_co_u32_e32 v13, vcc, 0, v9, vcc
	s_cbranch_execz .LBB20_62
	s_branch .LBB20_63
.LBB20_61:
                                        ; implicit-def: $vgpr10_vgpr11
                                        ; implicit-def: $vgpr12_vgpr13
.LBB20_62:
	v_mad_u64_u32 v[10:11], s[0:1], v21, s30, 0
	v_mov_b32_e32 v12, v11
	v_mad_u64_u32 v[12:13], s[0:1], v21, s31, v[12:13]
	v_mov_b32_e32 v11, v12
	v_lshlrev_b64 v[10:11], 3, v[10:11]
	v_add_co_u32_e32 v12, vcc, v17, v10
	v_addc_co_u32_e32 v13, vcc, v20, v11, vcc
	v_add_co_u32_e32 v10, vcc, 0x200, v12
	v_addc_co_u32_e32 v11, vcc, 0, v13, vcc
	;; [unrolled: 2-line block ×3, first 2 shown]
.LBB20_63:
	global_load_dword v21, v[10:11], off
	global_load_dword v22, v[12:13], off
	s_waitcnt vmcnt(1)
	v_cmp_neq_f32_e32 vcc, 0, v21
	s_waitcnt vmcnt(0)
	v_cmp_neq_f32_e64 s[0:1], 0, v22
	s_or_b64 s[0:1], vcc, s[0:1]
	v_cndmask_b32_e64 v10, 0, 1, s[0:1]
	v_add_co_u32_e32 v2, vcc, v2, v10
	v_addc_co_u32_e32 v3, vcc, 0, v3, vcc
.LBB20_64:
	s_or_b64 exec, exec, s[8:9]
	v_or_b32_e32 v21, 2, v16
	v_cmp_gt_i32_e32 vcc, s26, v21
	s_and_saveexec_b64 s[8:9], vcc
	s_cbranch_execz .LBB20_70
; %bb.65:
	s_andn2_b64 vcc, exec, s[2:3]
	s_cbranch_vccnz .LBB20_67
; %bb.66:
	v_add_co_u32_e32 v10, vcc, 16, v8
	v_addc_co_u32_e32 v11, vcc, 0, v9, vcc
	v_add_co_u32_e32 v12, vcc, 20, v8
	v_addc_co_u32_e32 v13, vcc, 0, v9, vcc
	s_cbranch_execz .LBB20_68
	s_branch .LBB20_69
.LBB20_67:
                                        ; implicit-def: $vgpr10_vgpr11
                                        ; implicit-def: $vgpr12_vgpr13
.LBB20_68:
	v_mad_u64_u32 v[10:11], s[0:1], v21, s30, 0
	v_mov_b32_e32 v12, v11
	v_mad_u64_u32 v[12:13], s[0:1], v21, s31, v[12:13]
	v_mov_b32_e32 v11, v12
	v_lshlrev_b64 v[10:11], 3, v[10:11]
	v_add_co_u32_e32 v12, vcc, v17, v10
	v_addc_co_u32_e32 v13, vcc, v20, v11, vcc
	v_add_co_u32_e32 v10, vcc, 0x200, v12
	v_addc_co_u32_e32 v11, vcc, 0, v13, vcc
	;; [unrolled: 2-line block ×3, first 2 shown]
.LBB20_69:
	global_load_dword v21, v[10:11], off
	global_load_dword v22, v[12:13], off
	s_waitcnt vmcnt(1)
	v_cmp_neq_f32_e32 vcc, 0, v21
	s_waitcnt vmcnt(0)
	v_cmp_neq_f32_e64 s[0:1], 0, v22
	s_or_b64 s[0:1], vcc, s[0:1]
	v_cndmask_b32_e64 v10, 0, 1, s[0:1]
	v_add_co_u32_e32 v2, vcc, v2, v10
	v_addc_co_u32_e32 v3, vcc, 0, v3, vcc
.LBB20_70:
	s_or_b64 exec, exec, s[8:9]
	v_or_b32_e32 v12, 3, v16
	v_cmp_gt_i32_e32 vcc, s26, v12
	s_and_saveexec_b64 s[8:9], vcc
	s_cbranch_execz .LBB20_76
; %bb.71:
	s_andn2_b64 vcc, exec, s[2:3]
	s_cbranch_vccnz .LBB20_73
; %bb.72:
	v_add_co_u32_e32 v10, vcc, 24, v8
	v_addc_co_u32_e32 v11, vcc, 0, v9, vcc
	v_add_co_u32_e32 v8, vcc, 28, v8
	v_addc_co_u32_e32 v9, vcc, 0, v9, vcc
	s_cbranch_execz .LBB20_74
	s_branch .LBB20_75
.LBB20_73:
                                        ; implicit-def: $vgpr10_vgpr11
                                        ; implicit-def: $vgpr8_vgpr9
.LBB20_74:
	v_mad_u64_u32 v[8:9], s[0:1], v12, s30, 0
	v_mov_b32_e32 v10, v9
	v_mad_u64_u32 v[10:11], s[0:1], v12, s31, v[10:11]
	v_mov_b32_e32 v9, v10
	v_lshlrev_b64 v[8:9], 3, v[8:9]
	v_add_co_u32_e32 v8, vcc, v17, v8
	v_addc_co_u32_e32 v9, vcc, v20, v9, vcc
	v_add_co_u32_e32 v10, vcc, 0x200, v8
	v_addc_co_u32_e32 v11, vcc, 0, v9, vcc
	;; [unrolled: 2-line block ×3, first 2 shown]
.LBB20_75:
	global_load_dword v12, v[10:11], off
	global_load_dword v13, v[8:9], off
	s_waitcnt vmcnt(1)
	v_cmp_neq_f32_e32 vcc, 0, v12
	s_waitcnt vmcnt(0)
	v_cmp_neq_f32_e64 s[0:1], 0, v13
	s_or_b64 s[0:1], vcc, s[0:1]
	v_cndmask_b32_e64 v8, 0, 1, s[0:1]
	v_add_co_u32_e32 v2, vcc, v2, v8
	v_addc_co_u32_e32 v3, vcc, 0, v3, vcc
.LBB20_76:
	s_or_b64 exec, exec, s[8:9]
.LBB20_77:
	s_or_b64 exec, exec, s[6:7]
	v_or_b32_e32 v8, 0x80, v18
	v_cmp_gt_i32_e32 vcc, s25, v8
	s_and_saveexec_b64 s[6:7], vcc
	s_cbranch_execz .LBB20_101
; %bb.78:
	v_ashrrev_i32_e32 v9, 31, v8
	v_mul_lo_u32 v10, v8, s31
	v_mul_lo_u32 v11, v9, s30
	v_mad_u64_u32 v[8:9], s[0:1], v8, s30, 0
	v_add3_u32 v9, v9, v10, v11
	v_lshlrev_b64 v[8:9], 3, v[8:9]
	v_add_co_u32_e32 v8, vcc, v14, v8
	v_addc_co_u32_e32 v9, vcc, v15, v9, vcc
	v_lshlrev_b64 v[10:11], 3, v[18:19]
	v_mov_b32_e32 v12, s29
	v_add_co_u32_e32 v17, vcc, s28, v10
	v_addc_co_u32_e32 v20, vcc, v12, v11, vcc
	v_cmp_gt_i32_e32 vcc, s26, v16
	s_and_saveexec_b64 s[8:9], vcc
	s_cbranch_execz .LBB20_82
; %bb.79:
	s_andn2_b64 vcc, exec, s[4:5]
	v_pk_mov_b32 v[10:11], v[8:9], v[8:9] op_sel:[0,1]
	s_cbranch_vccnz .LBB20_81
; %bb.80:
	v_mad_u64_u32 v[10:11], s[0:1], v16, s30, 0
	v_mov_b32_e32 v12, v11
	v_mad_u64_u32 v[12:13], s[0:1], v16, s31, v[12:13]
	v_mov_b32_e32 v11, v12
	v_lshlrev_b64 v[10:11], 3, v[10:11]
	v_add_co_u32_e32 v10, vcc, v17, v10
	v_addc_co_u32_e32 v11, vcc, v20, v11, vcc
	v_add_co_u32_e32 v10, vcc, 0x400, v10
	v_addc_co_u32_e32 v11, vcc, 0, v11, vcc
.LBB20_81:
	global_load_dwordx2 v[10:11], v[10:11], off
	s_waitcnt vmcnt(0)
	v_cmp_neq_f32_e32 vcc, 0, v10
	v_cmp_neq_f32_e64 s[0:1], 0, v11
	s_or_b64 s[0:1], vcc, s[0:1]
	v_cndmask_b32_e64 v10, 0, 1, s[0:1]
	v_add_co_u32_e32 v4, vcc, v4, v10
	v_addc_co_u32_e32 v5, vcc, 0, v5, vcc
.LBB20_82:
	s_or_b64 exec, exec, s[8:9]
	v_or_b32_e32 v21, 1, v16
	v_cmp_gt_i32_e32 vcc, s26, v21
	s_and_saveexec_b64 s[8:9], vcc
	s_cbranch_execz .LBB20_88
; %bb.83:
	s_andn2_b64 vcc, exec, s[2:3]
	s_cbranch_vccnz .LBB20_85
; %bb.84:
	v_add_co_u32_e32 v10, vcc, 8, v8
	v_addc_co_u32_e32 v11, vcc, 0, v9, vcc
	v_add_co_u32_e32 v12, vcc, 12, v8
	v_addc_co_u32_e32 v13, vcc, 0, v9, vcc
	s_cbranch_execz .LBB20_86
	s_branch .LBB20_87
.LBB20_85:
                                        ; implicit-def: $vgpr10_vgpr11
                                        ; implicit-def: $vgpr12_vgpr13
.LBB20_86:
	v_mad_u64_u32 v[10:11], s[0:1], v21, s30, 0
	v_mov_b32_e32 v12, v11
	v_mad_u64_u32 v[12:13], s[0:1], v21, s31, v[12:13]
	v_mov_b32_e32 v11, v12
	v_lshlrev_b64 v[10:11], 3, v[10:11]
	v_add_co_u32_e32 v12, vcc, v17, v10
	v_addc_co_u32_e32 v13, vcc, v20, v11, vcc
	v_add_co_u32_e32 v10, vcc, 0x400, v12
	v_addc_co_u32_e32 v11, vcc, 0, v13, vcc
	;; [unrolled: 2-line block ×3, first 2 shown]
.LBB20_87:
	global_load_dword v21, v[10:11], off
	global_load_dword v22, v[12:13], off
	s_waitcnt vmcnt(1)
	v_cmp_neq_f32_e32 vcc, 0, v21
	s_waitcnt vmcnt(0)
	v_cmp_neq_f32_e64 s[0:1], 0, v22
	s_or_b64 s[0:1], vcc, s[0:1]
	v_cndmask_b32_e64 v10, 0, 1, s[0:1]
	v_add_co_u32_e32 v4, vcc, v4, v10
	v_addc_co_u32_e32 v5, vcc, 0, v5, vcc
.LBB20_88:
	s_or_b64 exec, exec, s[8:9]
	v_or_b32_e32 v21, 2, v16
	v_cmp_gt_i32_e32 vcc, s26, v21
	s_and_saveexec_b64 s[8:9], vcc
	s_cbranch_execz .LBB20_94
; %bb.89:
	s_andn2_b64 vcc, exec, s[2:3]
	s_cbranch_vccnz .LBB20_91
; %bb.90:
	v_add_co_u32_e32 v10, vcc, 16, v8
	v_addc_co_u32_e32 v11, vcc, 0, v9, vcc
	v_add_co_u32_e32 v12, vcc, 20, v8
	v_addc_co_u32_e32 v13, vcc, 0, v9, vcc
	s_cbranch_execz .LBB20_92
	s_branch .LBB20_93
.LBB20_91:
                                        ; implicit-def: $vgpr10_vgpr11
                                        ; implicit-def: $vgpr12_vgpr13
.LBB20_92:
	v_mad_u64_u32 v[10:11], s[0:1], v21, s30, 0
	v_mov_b32_e32 v12, v11
	v_mad_u64_u32 v[12:13], s[0:1], v21, s31, v[12:13]
	v_mov_b32_e32 v11, v12
	v_lshlrev_b64 v[10:11], 3, v[10:11]
	v_add_co_u32_e32 v12, vcc, v17, v10
	v_addc_co_u32_e32 v13, vcc, v20, v11, vcc
	v_add_co_u32_e32 v10, vcc, 0x400, v12
	v_addc_co_u32_e32 v11, vcc, 0, v13, vcc
	;; [unrolled: 2-line block ×3, first 2 shown]
.LBB20_93:
	global_load_dword v21, v[10:11], off
	global_load_dword v22, v[12:13], off
	s_waitcnt vmcnt(1)
	v_cmp_neq_f32_e32 vcc, 0, v21
	s_waitcnt vmcnt(0)
	v_cmp_neq_f32_e64 s[0:1], 0, v22
	s_or_b64 s[0:1], vcc, s[0:1]
	v_cndmask_b32_e64 v10, 0, 1, s[0:1]
	v_add_co_u32_e32 v4, vcc, v4, v10
	v_addc_co_u32_e32 v5, vcc, 0, v5, vcc
.LBB20_94:
	s_or_b64 exec, exec, s[8:9]
	v_or_b32_e32 v12, 3, v16
	v_cmp_gt_i32_e32 vcc, s26, v12
	s_and_saveexec_b64 s[8:9], vcc
	s_cbranch_execz .LBB20_100
; %bb.95:
	s_andn2_b64 vcc, exec, s[2:3]
	s_cbranch_vccnz .LBB20_97
; %bb.96:
	v_add_co_u32_e32 v10, vcc, 24, v8
	v_addc_co_u32_e32 v11, vcc, 0, v9, vcc
	v_add_co_u32_e32 v8, vcc, 28, v8
	v_addc_co_u32_e32 v9, vcc, 0, v9, vcc
	s_cbranch_execz .LBB20_98
	s_branch .LBB20_99
.LBB20_97:
                                        ; implicit-def: $vgpr10_vgpr11
                                        ; implicit-def: $vgpr8_vgpr9
.LBB20_98:
	v_mad_u64_u32 v[8:9], s[0:1], v12, s30, 0
	v_mov_b32_e32 v10, v9
	v_mad_u64_u32 v[10:11], s[0:1], v12, s31, v[10:11]
	v_mov_b32_e32 v9, v10
	v_lshlrev_b64 v[8:9], 3, v[8:9]
	v_add_co_u32_e32 v8, vcc, v17, v8
	v_addc_co_u32_e32 v9, vcc, v20, v9, vcc
	v_add_co_u32_e32 v10, vcc, 0x400, v8
	v_addc_co_u32_e32 v11, vcc, 0, v9, vcc
	;; [unrolled: 2-line block ×3, first 2 shown]
.LBB20_99:
	global_load_dword v12, v[10:11], off
	global_load_dword v13, v[8:9], off
	s_waitcnt vmcnt(1)
	v_cmp_neq_f32_e32 vcc, 0, v12
	s_waitcnt vmcnt(0)
	v_cmp_neq_f32_e64 s[0:1], 0, v13
	s_or_b64 s[0:1], vcc, s[0:1]
	v_cndmask_b32_e64 v8, 0, 1, s[0:1]
	v_add_co_u32_e32 v4, vcc, v4, v8
	v_addc_co_u32_e32 v5, vcc, 0, v5, vcc
.LBB20_100:
	s_or_b64 exec, exec, s[8:9]
.LBB20_101:
	s_or_b64 exec, exec, s[6:7]
	v_or_b32_e32 v8, 0xc0, v18
	v_cmp_gt_i32_e32 vcc, s25, v8
	s_and_saveexec_b64 s[6:7], vcc
	s_cbranch_execz .LBB20_125
; %bb.102:
	v_ashrrev_i32_e32 v9, 31, v8
	v_mul_lo_u32 v10, v8, s31
	v_mul_lo_u32 v11, v9, s30
	v_mad_u64_u32 v[8:9], s[0:1], v8, s30, 0
	v_add3_u32 v9, v9, v10, v11
	v_lshlrev_b64 v[8:9], 3, v[8:9]
	v_add_co_u32_e32 v8, vcc, v14, v8
	v_addc_co_u32_e32 v9, vcc, v15, v9, vcc
	v_lshlrev_b64 v[10:11], 3, v[18:19]
	v_mov_b32_e32 v12, s29
	v_add_co_u32_e32 v14, vcc, s28, v10
	v_addc_co_u32_e32 v15, vcc, v12, v11, vcc
	v_cmp_gt_i32_e32 vcc, s26, v16
	s_and_saveexec_b64 s[8:9], vcc
	s_cbranch_execz .LBB20_106
; %bb.103:
	s_andn2_b64 vcc, exec, s[4:5]
	v_pk_mov_b32 v[10:11], v[8:9], v[8:9] op_sel:[0,1]
	s_cbranch_vccnz .LBB20_105
; %bb.104:
	v_mad_u64_u32 v[10:11], s[0:1], v16, s30, 0
	v_mov_b32_e32 v12, v11
	v_mad_u64_u32 v[12:13], s[0:1], v16, s31, v[12:13]
	v_mov_b32_e32 v11, v12
	v_lshlrev_b64 v[10:11], 3, v[10:11]
	v_add_co_u32_e32 v10, vcc, v14, v10
	v_addc_co_u32_e32 v11, vcc, v15, v11, vcc
	v_add_co_u32_e32 v10, vcc, 0x600, v10
	v_addc_co_u32_e32 v11, vcc, 0, v11, vcc
.LBB20_105:
	global_load_dwordx2 v[10:11], v[10:11], off
	s_waitcnt vmcnt(0)
	v_cmp_neq_f32_e32 vcc, 0, v10
	v_cmp_neq_f32_e64 s[0:1], 0, v11
	s_or_b64 s[0:1], vcc, s[0:1]
	v_cndmask_b32_e64 v10, 0, 1, s[0:1]
	v_add_co_u32_e32 v6, vcc, v6, v10
	v_addc_co_u32_e32 v7, vcc, 0, v7, vcc
.LBB20_106:
	s_or_b64 exec, exec, s[8:9]
	v_or_b32_e32 v17, 1, v16
	v_cndmask_b32_e64 v10, 0, 1, s[2:3]
	v_cmp_gt_i32_e32 vcc, s26, v17
	v_cmp_ne_u32_e64 s[0:1], 1, v10
	s_and_saveexec_b64 s[4:5], vcc
	s_cbranch_execz .LBB20_112
; %bb.107:
	s_and_b64 vcc, exec, s[0:1]
	s_cbranch_vccnz .LBB20_109
; %bb.108:
	v_add_co_u32_e32 v10, vcc, 8, v8
	v_addc_co_u32_e32 v11, vcc, 0, v9, vcc
	v_add_co_u32_e32 v12, vcc, 12, v8
	v_addc_co_u32_e32 v13, vcc, 0, v9, vcc
	s_cbranch_execz .LBB20_110
	s_branch .LBB20_111
.LBB20_109:
                                        ; implicit-def: $vgpr10_vgpr11
                                        ; implicit-def: $vgpr12_vgpr13
.LBB20_110:
	v_mad_u64_u32 v[10:11], s[2:3], v17, s30, 0
	v_mov_b32_e32 v12, v11
	v_mad_u64_u32 v[12:13], s[2:3], v17, s31, v[12:13]
	v_mov_b32_e32 v11, v12
	v_lshlrev_b64 v[10:11], 3, v[10:11]
	v_add_co_u32_e32 v12, vcc, v14, v10
	v_addc_co_u32_e32 v13, vcc, v15, v11, vcc
	v_add_co_u32_e32 v10, vcc, 0x600, v12
	v_addc_co_u32_e32 v11, vcc, 0, v13, vcc
	;; [unrolled: 2-line block ×3, first 2 shown]
.LBB20_111:
	global_load_dword v17, v[10:11], off
	global_load_dword v18, v[12:13], off
	s_waitcnt vmcnt(1)
	v_cmp_neq_f32_e32 vcc, 0, v17
	s_waitcnt vmcnt(0)
	v_cmp_neq_f32_e64 s[2:3], 0, v18
	s_or_b64 s[2:3], vcc, s[2:3]
	v_cndmask_b32_e64 v10, 0, 1, s[2:3]
	v_add_co_u32_e32 v6, vcc, v6, v10
	v_addc_co_u32_e32 v7, vcc, 0, v7, vcc
.LBB20_112:
	s_or_b64 exec, exec, s[4:5]
	v_or_b32_e32 v17, 2, v16
	v_cmp_gt_i32_e32 vcc, s26, v17
	s_and_saveexec_b64 s[4:5], vcc
	s_cbranch_execz .LBB20_118
; %bb.113:
	s_and_b64 vcc, exec, s[0:1]
	s_cbranch_vccnz .LBB20_115
; %bb.114:
	v_add_co_u32_e32 v10, vcc, 16, v8
	v_addc_co_u32_e32 v11, vcc, 0, v9, vcc
	v_add_co_u32_e32 v12, vcc, 20, v8
	v_addc_co_u32_e32 v13, vcc, 0, v9, vcc
	s_cbranch_execz .LBB20_116
	s_branch .LBB20_117
.LBB20_115:
                                        ; implicit-def: $vgpr10_vgpr11
                                        ; implicit-def: $vgpr12_vgpr13
.LBB20_116:
	v_mad_u64_u32 v[10:11], s[2:3], v17, s30, 0
	v_mov_b32_e32 v12, v11
	v_mad_u64_u32 v[12:13], s[2:3], v17, s31, v[12:13]
	v_mov_b32_e32 v11, v12
	v_lshlrev_b64 v[10:11], 3, v[10:11]
	v_add_co_u32_e32 v12, vcc, v14, v10
	v_addc_co_u32_e32 v13, vcc, v15, v11, vcc
	v_add_co_u32_e32 v10, vcc, 0x600, v12
	v_addc_co_u32_e32 v11, vcc, 0, v13, vcc
	;; [unrolled: 2-line block ×3, first 2 shown]
.LBB20_117:
	global_load_dword v17, v[10:11], off
	global_load_dword v18, v[12:13], off
	s_waitcnt vmcnt(1)
	v_cmp_neq_f32_e32 vcc, 0, v17
	s_waitcnt vmcnt(0)
	v_cmp_neq_f32_e64 s[2:3], 0, v18
	s_or_b64 s[2:3], vcc, s[2:3]
	v_cndmask_b32_e64 v10, 0, 1, s[2:3]
	v_add_co_u32_e32 v6, vcc, v6, v10
	v_addc_co_u32_e32 v7, vcc, 0, v7, vcc
.LBB20_118:
	s_or_b64 exec, exec, s[4:5]
	v_or_b32_e32 v12, 3, v16
	v_cmp_gt_i32_e32 vcc, s26, v12
	s_and_saveexec_b64 s[2:3], vcc
	s_cbranch_execz .LBB20_124
; %bb.119:
	s_and_b64 vcc, exec, s[0:1]
	s_cbranch_vccnz .LBB20_121
; %bb.120:
	v_add_co_u32_e32 v10, vcc, 24, v8
	v_addc_co_u32_e32 v11, vcc, 0, v9, vcc
	v_add_co_u32_e32 v8, vcc, 28, v8
	v_addc_co_u32_e32 v9, vcc, 0, v9, vcc
	s_cbranch_execz .LBB20_122
	s_branch .LBB20_123
.LBB20_121:
                                        ; implicit-def: $vgpr10_vgpr11
                                        ; implicit-def: $vgpr8_vgpr9
.LBB20_122:
	v_mad_u64_u32 v[8:9], s[0:1], v12, s30, 0
	v_mov_b32_e32 v10, v9
	v_mad_u64_u32 v[10:11], s[0:1], v12, s31, v[10:11]
	v_mov_b32_e32 v9, v10
	v_lshlrev_b64 v[8:9], 3, v[8:9]
	v_add_co_u32_e32 v8, vcc, v14, v8
	v_addc_co_u32_e32 v9, vcc, v15, v9, vcc
	v_add_co_u32_e32 v10, vcc, 0x600, v8
	v_addc_co_u32_e32 v11, vcc, 0, v9, vcc
	;; [unrolled: 2-line block ×3, first 2 shown]
.LBB20_123:
	global_load_dword v12, v[10:11], off
	global_load_dword v13, v[8:9], off
	s_waitcnt vmcnt(1)
	v_cmp_neq_f32_e32 vcc, 0, v12
	s_waitcnt vmcnt(0)
	v_cmp_neq_f32_e64 s[0:1], 0, v13
	s_or_b64 s[0:1], vcc, s[0:1]
	v_cndmask_b32_e64 v8, 0, 1, s[0:1]
	v_add_co_u32_e32 v6, vcc, v6, v8
	v_addc_co_u32_e32 v7, vcc, 0, v7, vcc
.LBB20_124:
	s_or_b64 exec, exec, s[2:3]
.LBB20_125:
	s_or_b64 exec, exec, s[6:7]
.LBB20_126:
	v_lshlrev_b32_e32 v8, 2, v33
	s_mov_b32 s0, 0x1fffff00
	v_and_or_b32 v8, v8, s0, v35
	s_movk_i32 s0, 0x100
	v_lshlrev_b32_e32 v8, 3, v8
	v_cmp_gt_u32_e32 vcc, s0, v33
	ds_write2st64_b64 v8, v[0:1], v[2:3] offset1:1
	ds_write2st64_b64 v8, v[4:5], v[6:7] offset0:2 offset1:3
	s_waitcnt lgkmcnt(0)
	s_barrier
	s_and_saveexec_b64 s[0:1], vcc
	s_cbranch_execz .LBB20_129
; %bb.127:
	v_lshlrev_b32_e32 v1, 3, v33
	ds_read2st64_b64 v[2:5], v1 offset1:4
	ds_read2st64_b64 v[6:9], v1 offset0:8 offset1:12
	v_add_u32_e32 v0, s27, v33
	s_waitcnt lgkmcnt(1)
	v_add_co_u32_e32 v2, vcc, v2, v4
	v_addc_co_u32_e32 v3, vcc, v3, v5, vcc
	s_waitcnt lgkmcnt(0)
	v_add_co_u32_e32 v6, vcc, v2, v6
	v_addc_co_u32_e32 v7, vcc, v3, v7, vcc
	ds_read2st64_b64 v[2:5], v1 offset0:16 offset1:20
	v_add_co_u32_e32 v6, vcc, v6, v8
	v_addc_co_u32_e32 v7, vcc, v7, v9, vcc
	s_waitcnt lgkmcnt(0)
	v_add_co_u32_e32 v2, vcc, v6, v2
	v_addc_co_u32_e32 v3, vcc, v7, v3, vcc
	ds_read2st64_b64 v[6:9], v1 offset0:24 offset1:28
	;; [unrolled: 6-line block ×6, first 2 shown]
	v_add_co_u32_e32 v2, vcc, v2, v4
	v_addc_co_u32_e32 v3, vcc, v3, v5, vcc
	s_waitcnt lgkmcnt(0)
	v_add_co_u32_e32 v2, vcc, v2, v6
	v_addc_co_u32_e32 v3, vcc, v3, v7, vcc
	v_add_co_u32_e32 v2, vcc, v2, v8
	v_addc_co_u32_e32 v3, vcc, v3, v9, vcc
	v_cmp_gt_i32_e32 vcc, s25, v0
	ds_write_b64 v1, v[2:3]
	s_and_b64 exec, exec, vcc
	s_cbranch_execz .LBB20_129
; %bb.128:
	v_ashrrev_i32_e32 v1, 31, v0
	v_lshlrev_b64 v[0:1], 3, v[0:1]
	v_mov_b32_e32 v4, s35
	v_add_co_u32_e32 v0, vcc, s34, v0
	v_addc_co_u32_e32 v1, vcc, v4, v1, vcc
	global_store_dwordx2 v[0:1], v[2:3], off
.LBB20_129:
	s_endpgm
	.section	.rodata,"a",@progbits
	.p2align	6, 0x0
	.amdhsa_kernel _ZN9rocsparseL14nnz_kernel_rowILi64ELi16Eli21rocsparse_complex_numIfEEEv16rocsparse_order_T2_S4_PKT3_lPT1_
		.amdhsa_group_segment_fixed_size 32768
		.amdhsa_private_segment_fixed_size 0
		.amdhsa_kernarg_size 296
		.amdhsa_user_sgpr_count 6
		.amdhsa_user_sgpr_private_segment_buffer 1
		.amdhsa_user_sgpr_dispatch_ptr 0
		.amdhsa_user_sgpr_queue_ptr 0
		.amdhsa_user_sgpr_kernarg_segment_ptr 1
		.amdhsa_user_sgpr_dispatch_id 0
		.amdhsa_user_sgpr_flat_scratch_init 0
		.amdhsa_user_sgpr_kernarg_preload_length 0
		.amdhsa_user_sgpr_kernarg_preload_offset 0
		.amdhsa_user_sgpr_private_segment_size 0
		.amdhsa_uses_dynamic_stack 0
		.amdhsa_system_sgpr_private_segment_wavefront_offset 0
		.amdhsa_system_sgpr_workgroup_id_x 1
		.amdhsa_system_sgpr_workgroup_id_y 0
		.amdhsa_system_sgpr_workgroup_id_z 0
		.amdhsa_system_sgpr_workgroup_info 0
		.amdhsa_system_vgpr_workitem_id 1
		.amdhsa_next_free_vgpr 46
		.amdhsa_next_free_sgpr 46
		.amdhsa_accum_offset 48
		.amdhsa_reserve_vcc 1
		.amdhsa_reserve_flat_scratch 0
		.amdhsa_float_round_mode_32 0
		.amdhsa_float_round_mode_16_64 0
		.amdhsa_float_denorm_mode_32 3
		.amdhsa_float_denorm_mode_16_64 3
		.amdhsa_dx10_clamp 1
		.amdhsa_ieee_mode 1
		.amdhsa_fp16_overflow 0
		.amdhsa_tg_split 0
		.amdhsa_exception_fp_ieee_invalid_op 0
		.amdhsa_exception_fp_denorm_src 0
		.amdhsa_exception_fp_ieee_div_zero 0
		.amdhsa_exception_fp_ieee_overflow 0
		.amdhsa_exception_fp_ieee_underflow 0
		.amdhsa_exception_fp_ieee_inexact 0
		.amdhsa_exception_int_div_zero 0
	.end_amdhsa_kernel
	.section	.text._ZN9rocsparseL14nnz_kernel_rowILi64ELi16Eli21rocsparse_complex_numIfEEEv16rocsparse_order_T2_S4_PKT3_lPT1_,"axG",@progbits,_ZN9rocsparseL14nnz_kernel_rowILi64ELi16Eli21rocsparse_complex_numIfEEEv16rocsparse_order_T2_S4_PKT3_lPT1_,comdat
.Lfunc_end20:
	.size	_ZN9rocsparseL14nnz_kernel_rowILi64ELi16Eli21rocsparse_complex_numIfEEEv16rocsparse_order_T2_S4_PKT3_lPT1_, .Lfunc_end20-_ZN9rocsparseL14nnz_kernel_rowILi64ELi16Eli21rocsparse_complex_numIfEEEv16rocsparse_order_T2_S4_PKT3_lPT1_
                                        ; -- End function
	.section	.AMDGPU.csdata,"",@progbits
; Kernel info:
; codeLenInByte = 6224
; NumSgprs: 50
; NumVgprs: 46
; NumAgprs: 0
; TotalNumVgprs: 46
; ScratchSize: 0
; MemoryBound: 0
; FloatMode: 240
; IeeeMode: 1
; LDSByteSize: 32768 bytes/workgroup (compile time only)
; SGPRBlocks: 6
; VGPRBlocks: 5
; NumSGPRsForWavesPerEU: 50
; NumVGPRsForWavesPerEU: 46
; AccumOffset: 48
; Occupancy: 8
; WaveLimiterHint : 0
; COMPUTE_PGM_RSRC2:SCRATCH_EN: 0
; COMPUTE_PGM_RSRC2:USER_SGPR: 6
; COMPUTE_PGM_RSRC2:TRAP_HANDLER: 0
; COMPUTE_PGM_RSRC2:TGID_X_EN: 1
; COMPUTE_PGM_RSRC2:TGID_Y_EN: 0
; COMPUTE_PGM_RSRC2:TGID_Z_EN: 0
; COMPUTE_PGM_RSRC2:TIDIG_COMP_CNT: 1
; COMPUTE_PGM_RSRC3_GFX90A:ACCUM_OFFSET: 11
; COMPUTE_PGM_RSRC3_GFX90A:TG_SPLIT: 0
	.section	.text._ZN9rocsparseL14nnz_kernel_colILi256Eli21rocsparse_complex_numIfEEEv16rocsparse_order_T1_S4_PKT2_lPT0_,"axG",@progbits,_ZN9rocsparseL14nnz_kernel_colILi256Eli21rocsparse_complex_numIfEEEv16rocsparse_order_T1_S4_PKT2_lPT0_,comdat
	.globl	_ZN9rocsparseL14nnz_kernel_colILi256Eli21rocsparse_complex_numIfEEEv16rocsparse_order_T1_S4_PKT2_lPT0_ ; -- Begin function _ZN9rocsparseL14nnz_kernel_colILi256Eli21rocsparse_complex_numIfEEEv16rocsparse_order_T1_S4_PKT2_lPT0_
	.p2align	8
	.type	_ZN9rocsparseL14nnz_kernel_colILi256Eli21rocsparse_complex_numIfEEEv16rocsparse_order_T1_S4_PKT2_lPT0_,@function
_ZN9rocsparseL14nnz_kernel_colILi256Eli21rocsparse_complex_numIfEEEv16rocsparse_order_T1_S4_PKT2_lPT0_: ; @_ZN9rocsparseL14nnz_kernel_colILi256Eli21rocsparse_complex_numIfEEEv16rocsparse_order_T1_S4_PKT2_lPT0_
; %bb.0:
	s_load_dwordx2 s[2:3], s[4:5], 0x0
	s_load_dwordx4 s[8:11], s[4:5], 0x10
	s_waitcnt lgkmcnt(0)
	s_ashr_i32 s0, s3, 31
	s_lshr_b32 s0, s0, 24
	s_add_i32 s0, s3, s0
	s_and_b32 s12, s0, 0xffffff00
	s_cmp_eq_u32 s2, 1
	s_cbranch_scc1 .LBB21_6
; %bb.1:
	s_cmpk_lt_i32 s3, 0x100
	v_pk_mov_b32 v[2:3], 0, 0
	s_cbranch_scc1 .LBB21_7
; %bb.2:
	v_mad_u64_u32 v[2:3], s[0:1], s10, v0, 0
	v_mov_b32_e32 v4, v3
	s_ashr_i32 s7, s6, 31
	v_mad_u64_u32 v[4:5], s[0:1], s11, v0, v[4:5]
	s_lshl_b64 s[0:1], s[6:7], 3
	v_mov_b32_e32 v3, v4
	s_add_u32 s0, s8, s0
	v_lshlrev_b64 v[2:3], 3, v[2:3]
	s_addc_u32 s1, s9, s1
	v_mov_b32_e32 v1, s1
	v_add_co_u32_e32 v2, vcc, s0, v2
	v_addc_co_u32_e32 v1, vcc, v1, v3, vcc
	v_add_co_u32_e32 v4, vcc, 4, v2
	s_lshl_b64 s[14:15], s[10:11], 11
	v_addc_co_u32_e32 v5, vcc, 0, v1, vcc
	s_mov_b32 s2, 0
	v_pk_mov_b32 v[2:3], 0, 0
	v_mov_b32_e32 v1, s15
	s_branch .LBB21_4
.LBB21_3:                               ;   in Loop: Header=BB21_4 Depth=1
	s_or_b64 exec, exec, s[16:17]
	s_addk_i32 s2, 0x100
	v_add_co_u32_e32 v4, vcc, s14, v4
	s_cmp_ge_i32 s2, s12
	v_addc_co_u32_e32 v5, vcc, v5, v1, vcc
	s_cbranch_scc1 .LBB21_7
.LBB21_4:                               ; =>This Inner Loop Header: Depth=1
	v_add_u32_e32 v6, s2, v0
	v_cmp_gt_i32_e32 vcc, s3, v6
	s_and_saveexec_b64 s[16:17], vcc
	s_cbranch_execz .LBB21_3
; %bb.5:                                ;   in Loop: Header=BB21_4 Depth=1
	global_load_dwordx2 v[6:7], v[4:5], off offset:-4
	s_waitcnt vmcnt(0)
	v_cmp_neq_f32_e32 vcc, 0, v6
	v_cmp_neq_f32_e64 s[0:1], 0, v7
	s_or_b64 s[0:1], vcc, s[0:1]
	v_cndmask_b32_e64 v6, 0, 1, s[0:1]
	v_add_co_u32_e32 v2, vcc, v2, v6
	v_addc_co_u32_e32 v3, vcc, 0, v3, vcc
	s_branch .LBB21_3
.LBB21_6:
	s_mov_b64 s[14:15], 0
                                        ; implicit-def: $vgpr2_vgpr3
                                        ; implicit-def: $vgpr4_vgpr5
	s_cbranch_execnz .LBB21_10
	s_branch .LBB21_16
.LBB21_7:
	v_add_u32_e32 v1, s12, v0
	v_cmp_gt_i32_e32 vcc, s3, v1
	s_mov_b64 s[0:1], 0
	s_mov_b64 s[14:15], 0
                                        ; implicit-def: $vgpr4_vgpr5
	s_and_saveexec_b64 s[16:17], vcc
	s_xor_b64 s[16:17], exec, s[16:17]
	s_cbranch_execz .LBB21_9
; %bb.8:
	v_ashrrev_i32_e32 v4, 31, v1
	s_ashr_i32 s7, s6, 31
	v_mul_lo_u32 v7, v4, s10
	v_mad_u64_u32 v[4:5], s[18:19], v1, s10, 0
	v_mul_lo_u32 v6, v1, s11
	s_lshl_b64 s[18:19], s[6:7], 3
	v_add3_u32 v5, v5, v6, v7
	s_add_u32 s2, s18, s8
	v_lshlrev_b64 v[4:5], 3, v[4:5]
	s_addc_u32 s7, s19, s9
	v_mov_b32_e32 v1, s7
	v_add_co_u32_e32 v4, vcc, s2, v4
	s_mov_b64 s[14:15], exec
	v_addc_co_u32_e32 v5, vcc, v1, v5, vcc
.LBB21_9:
	s_or_b64 exec, exec, s[16:17]
	s_and_b64 vcc, exec, s[0:1]
	s_cbranch_vccz .LBB21_16
.LBB21_10:
	s_ashr_i32 s0, s6, 31
	s_mul_i32 s1, s6, s11
	s_mul_hi_u32 s2, s6, s10
	s_add_i32 s1, s2, s1
	s_mul_i32 s0, s0, s10
	v_cmp_gt_i32_e32 vcc, s3, v0
	s_add_i32 s11, s1, s0
	v_cndmask_b32_e32 v1, 0, v0, vcc
	s_mul_i32 s10, s6, s10
	s_mov_b32 s2, 0
	s_cmpk_lt_i32 s3, 0x100
	v_pk_mov_b32 v[2:3], 0, 0
	v_lshlrev_b32_e32 v1, 3, v1
	s_cbranch_scc1 .LBB21_13
; %bb.11:
	s_lshl_b64 s[0:1], s[10:11], 3
	s_add_u32 s0, s8, s0
	s_addc_u32 s1, s9, s1
	v_mov_b32_e32 v2, s1
	v_add_co_u32_e32 v3, vcc, s0, v1
	v_addc_co_u32_e32 v2, vcc, 0, v2, vcc
	v_add_co_u32_e32 v4, vcc, 4, v3
	v_addc_co_u32_e32 v5, vcc, 0, v2, vcc
	v_pk_mov_b32 v[2:3], 0, 0
.LBB21_12:                              ; =>This Inner Loop Header: Depth=1
	global_load_dwordx2 v[6:7], v[4:5], off offset:-4
	v_add_co_u32_e32 v4, vcc, 0x800, v4
	v_addc_co_u32_e32 v5, vcc, 0, v5, vcc
	s_addk_i32 s2, 0x100
	s_waitcnt vmcnt(0)
	v_cmp_neq_f32_e32 vcc, 0, v6
	v_cmp_neq_f32_e64 s[0:1], 0, v7
	s_or_b64 s[0:1], vcc, s[0:1]
	v_cndmask_b32_e64 v6, 0, 1, s[0:1]
	v_add_co_u32_e32 v2, vcc, v2, v6
	s_cmp_ge_i32 s2, s12
	v_addc_co_u32_e32 v3, vcc, 0, v3, vcc
	s_cbranch_scc0 .LBB21_12
.LBB21_13:
	v_add_u32_e32 v4, s12, v0
	v_cmp_gt_i32_e32 vcc, s3, v4
                                        ; implicit-def: $vgpr4_vgpr5
	s_and_saveexec_b64 s[0:1], vcc
; %bb.14:
	s_lshl_b64 s[10:11], s[10:11], 3
	s_add_u32 s2, s8, s10
	s_addc_u32 s7, s9, s11
	s_ashr_i32 s13, s12, 31
	s_lshl_b64 s[8:9], s[12:13], 3
	s_add_u32 s2, s8, s2
	s_addc_u32 s7, s9, s7
	v_mov_b32_e32 v5, s7
	v_add_co_u32_e32 v4, vcc, s2, v1
	v_addc_co_u32_e32 v5, vcc, 0, v5, vcc
	s_or_b64 s[14:15], s[14:15], exec
; %bb.15:
	s_or_b64 exec, exec, s[0:1]
.LBB21_16:
	s_and_saveexec_b64 s[8:9], s[14:15]
	s_cbranch_execz .LBB21_18
; %bb.17:
	global_load_dwordx2 v[4:5], v[4:5], off
	s_waitcnt vmcnt(0)
	v_cmp_neq_f32_e32 vcc, 0, v4
	v_cmp_neq_f32_e64 s[0:1], 0, v5
	s_or_b64 s[0:1], vcc, s[0:1]
	v_cndmask_b32_e64 v1, 0, 1, s[0:1]
	v_add_co_u32_e32 v2, vcc, v2, v1
	v_addc_co_u32_e32 v3, vcc, 0, v3, vcc
.LBB21_18:
	s_or_b64 exec, exec, s[8:9]
	v_lshlrev_b32_e32 v1, 3, v0
	s_cmpk_lt_i32 s3, 0x100
	s_mov_b64 s[0:1], -1
	v_cmp_eq_u32_e32 vcc, 0, v0
	ds_write_b64 v1, v[2:3]
	s_waitcnt lgkmcnt(0)
	s_cbranch_scc1 .LBB21_22
; %bb.19:
	s_and_b64 vcc, exec, s[0:1]
	s_cbranch_vccnz .LBB21_32
.LBB21_20:
	v_cmp_eq_u32_e32 vcc, 0, v0
	s_and_saveexec_b64 s[0:1], vcc
	s_cbranch_execnz .LBB21_49
.LBB21_21:
	s_endpgm
.LBB21_22:
	s_cmp_gt_i32 s3, 1
	s_cselect_b64 s[0:1], -1, 0
	s_mov_b32 s7, 1
	s_and_b64 s[8:9], vcc, s[0:1]
	s_barrier
	s_and_saveexec_b64 s[0:1], s[8:9]
	s_cbranch_execz .LBB21_31
; %bb.23:
	v_mov_b32_e32 v2, 0
	ds_read_b64 v[2:3], v2
	s_add_i32 s2, s3, -1
	s_add_i32 s3, s3, -2
	s_cmp_lt_u32 s3, 7
	s_cbranch_scc1 .LBB21_27
; %bb.24:
	s_and_b32 s3, s2, -8
	s_mov_b32 s8, 0
	s_mov_b32 s7, 8
.LBB21_25:                              ; =>This Inner Loop Header: Depth=1
	v_mov_b32_e32 v16, s7
	ds_read2_b64 v[4:7], v16 offset1:1
	ds_read2_b64 v[8:11], v16 offset0:2 offset1:3
	ds_read2_b64 v[12:15], v16 offset0:4 offset1:5
	;; [unrolled: 1-line block ×3, first 2 shown]
	s_mov_b32 s9, s8
	s_waitcnt lgkmcnt(3)
	v_add_co_u32_e32 v2, vcc, v2, v4
	v_addc_co_u32_e32 v3, vcc, v3, v5, vcc
	v_add_co_u32_e32 v2, vcc, v2, v6
	v_addc_co_u32_e32 v3, vcc, v3, v7, vcc
	s_waitcnt lgkmcnt(2)
	v_add_co_u32_e32 v2, vcc, v2, v8
	v_addc_co_u32_e32 v3, vcc, v3, v9, vcc
	v_add_co_u32_e32 v2, vcc, v2, v10
	v_addc_co_u32_e32 v3, vcc, v3, v11, vcc
	;; [unrolled: 5-line block ×3, first 2 shown]
	s_waitcnt lgkmcnt(0)
	v_add_co_u32_e32 v2, vcc, v2, v16
	v_addc_co_u32_e32 v3, vcc, v3, v17, vcc
	s_add_i32 s7, s7, 64
	s_add_i32 s8, s8, 8
	v_add_co_u32_e32 v2, vcc, v2, v18
	s_cmp_lg_u32 s3, s8
	v_addc_co_u32_e32 v3, vcc, v3, v19, vcc
	s_cbranch_scc1 .LBB21_25
; %bb.26:
	s_add_i32 s7, s9, 9
.LBB21_27:
	s_and_b32 s2, s2, 7
	s_cmp_eq_u32 s2, 0
	s_cbranch_scc1 .LBB21_30
; %bb.28:
	s_lshl_b32 s3, s7, 3
.LBB21_29:                              ; =>This Inner Loop Header: Depth=1
	v_mov_b32_e32 v4, s3
	ds_read_b64 v[4:5], v4
	s_add_i32 s3, s3, 8
	s_add_i32 s2, s2, -1
	s_cmp_lg_u32 s2, 0
	s_waitcnt lgkmcnt(0)
	v_add_co_u32_e32 v2, vcc, v2, v4
	v_addc_co_u32_e32 v3, vcc, v3, v5, vcc
	s_cbranch_scc1 .LBB21_29
.LBB21_30:
	v_mov_b32_e32 v4, 0
	s_waitcnt lgkmcnt(0)
	ds_write_b64 v4, v[2:3]
.LBB21_31:
	s_or_b64 exec, exec, s[0:1]
	s_waitcnt lgkmcnt(0)
	s_barrier
	s_branch .LBB21_20
.LBB21_32:
	s_movk_i32 s0, 0x80
	v_cmp_gt_u32_e32 vcc, s0, v0
	s_barrier
	s_and_saveexec_b64 s[0:1], vcc
	s_cbranch_execz .LBB21_34
; %bb.33:
	ds_read2st64_b64 v[2:5], v1 offset1:2
	s_waitcnt lgkmcnt(0)
	v_add_co_u32_e32 v2, vcc, v2, v4
	v_addc_co_u32_e32 v3, vcc, v3, v5, vcc
	ds_write_b64 v1, v[2:3]
.LBB21_34:
	s_or_b64 exec, exec, s[0:1]
	v_cmp_gt_u32_e32 vcc, 64, v0
	s_waitcnt lgkmcnt(0)
	s_barrier
	s_and_saveexec_b64 s[0:1], vcc
	s_cbranch_execz .LBB21_36
; %bb.35:
	ds_read2st64_b64 v[2:5], v1 offset1:1
	s_waitcnt lgkmcnt(0)
	v_add_co_u32_e32 v2, vcc, v2, v4
	v_addc_co_u32_e32 v3, vcc, v3, v5, vcc
	ds_write_b64 v1, v[2:3]
.LBB21_36:
	s_or_b64 exec, exec, s[0:1]
	v_cmp_gt_u32_e32 vcc, 32, v0
	s_waitcnt lgkmcnt(0)
	s_barrier
	s_and_saveexec_b64 s[0:1], vcc
	s_cbranch_execz .LBB21_38
; %bb.37:
	ds_read2_b64 v[2:5], v1 offset1:32
	s_waitcnt lgkmcnt(0)
	v_add_co_u32_e32 v2, vcc, v2, v4
	v_addc_co_u32_e32 v3, vcc, v3, v5, vcc
	ds_write_b64 v1, v[2:3]
.LBB21_38:
	s_or_b64 exec, exec, s[0:1]
	v_cmp_gt_u32_e32 vcc, 16, v0
	s_waitcnt lgkmcnt(0)
	s_barrier
	s_and_saveexec_b64 s[0:1], vcc
	s_cbranch_execz .LBB21_40
; %bb.39:
	ds_read2_b64 v[2:5], v1 offset1:16
	s_waitcnt lgkmcnt(0)
	v_add_co_u32_e32 v2, vcc, v2, v4
	v_addc_co_u32_e32 v3, vcc, v3, v5, vcc
	ds_write_b64 v1, v[2:3]
.LBB21_40:
	;; [unrolled: 13-line block ×5, first 2 shown]
	s_or_b64 exec, exec, s[0:1]
	v_cmp_eq_u32_e32 vcc, 0, v0
	s_waitcnt lgkmcnt(0)
	s_barrier
	s_and_saveexec_b64 s[0:1], vcc
	s_cbranch_execz .LBB21_48
; %bb.47:
	v_mov_b32_e32 v1, 0
	ds_read_b128 v[2:5], v1
	s_waitcnt lgkmcnt(0)
	v_add_co_u32_e32 v2, vcc, v2, v4
	v_addc_co_u32_e32 v3, vcc, v3, v5, vcc
	ds_write_b64 v1, v[2:3]
.LBB21_48:
	s_or_b64 exec, exec, s[0:1]
	s_waitcnt lgkmcnt(0)
	s_barrier
	v_cmp_eq_u32_e32 vcc, 0, v0
	s_and_saveexec_b64 s[0:1], vcc
	s_cbranch_execz .LBB21_21
.LBB21_49:
	s_load_dwordx2 s[0:1], s[4:5], 0x20
	v_mov_b32_e32 v2, 0
	ds_read_b64 v[0:1], v2
	s_ashr_i32 s7, s6, 31
	s_lshl_b64 s[2:3], s[6:7], 3
	s_waitcnt lgkmcnt(0)
	s_add_u32 s0, s0, s2
	s_addc_u32 s1, s1, s3
	global_store_dwordx2 v2, v[0:1], s[0:1]
	s_endpgm
	.section	.rodata,"a",@progbits
	.p2align	6, 0x0
	.amdhsa_kernel _ZN9rocsparseL14nnz_kernel_colILi256Eli21rocsparse_complex_numIfEEEv16rocsparse_order_T1_S4_PKT2_lPT0_
		.amdhsa_group_segment_fixed_size 2048
		.amdhsa_private_segment_fixed_size 0
		.amdhsa_kernarg_size 40
		.amdhsa_user_sgpr_count 6
		.amdhsa_user_sgpr_private_segment_buffer 1
		.amdhsa_user_sgpr_dispatch_ptr 0
		.amdhsa_user_sgpr_queue_ptr 0
		.amdhsa_user_sgpr_kernarg_segment_ptr 1
		.amdhsa_user_sgpr_dispatch_id 0
		.amdhsa_user_sgpr_flat_scratch_init 0
		.amdhsa_user_sgpr_kernarg_preload_length 0
		.amdhsa_user_sgpr_kernarg_preload_offset 0
		.amdhsa_user_sgpr_private_segment_size 0
		.amdhsa_uses_dynamic_stack 0
		.amdhsa_system_sgpr_private_segment_wavefront_offset 0
		.amdhsa_system_sgpr_workgroup_id_x 1
		.amdhsa_system_sgpr_workgroup_id_y 0
		.amdhsa_system_sgpr_workgroup_id_z 0
		.amdhsa_system_sgpr_workgroup_info 0
		.amdhsa_system_vgpr_workitem_id 0
		.amdhsa_next_free_vgpr 20
		.amdhsa_next_free_sgpr 20
		.amdhsa_accum_offset 20
		.amdhsa_reserve_vcc 1
		.amdhsa_reserve_flat_scratch 0
		.amdhsa_float_round_mode_32 0
		.amdhsa_float_round_mode_16_64 0
		.amdhsa_float_denorm_mode_32 3
		.amdhsa_float_denorm_mode_16_64 3
		.amdhsa_dx10_clamp 1
		.amdhsa_ieee_mode 1
		.amdhsa_fp16_overflow 0
		.amdhsa_tg_split 0
		.amdhsa_exception_fp_ieee_invalid_op 0
		.amdhsa_exception_fp_denorm_src 0
		.amdhsa_exception_fp_ieee_div_zero 0
		.amdhsa_exception_fp_ieee_overflow 0
		.amdhsa_exception_fp_ieee_underflow 0
		.amdhsa_exception_fp_ieee_inexact 0
		.amdhsa_exception_int_div_zero 0
	.end_amdhsa_kernel
	.section	.text._ZN9rocsparseL14nnz_kernel_colILi256Eli21rocsparse_complex_numIfEEEv16rocsparse_order_T1_S4_PKT2_lPT0_,"axG",@progbits,_ZN9rocsparseL14nnz_kernel_colILi256Eli21rocsparse_complex_numIfEEEv16rocsparse_order_T1_S4_PKT2_lPT0_,comdat
.Lfunc_end21:
	.size	_ZN9rocsparseL14nnz_kernel_colILi256Eli21rocsparse_complex_numIfEEEv16rocsparse_order_T1_S4_PKT2_lPT0_, .Lfunc_end21-_ZN9rocsparseL14nnz_kernel_colILi256Eli21rocsparse_complex_numIfEEEv16rocsparse_order_T1_S4_PKT2_lPT0_
                                        ; -- End function
	.section	.AMDGPU.csdata,"",@progbits
; Kernel info:
; codeLenInByte = 1500
; NumSgprs: 24
; NumVgprs: 20
; NumAgprs: 0
; TotalNumVgprs: 20
; ScratchSize: 0
; MemoryBound: 0
; FloatMode: 240
; IeeeMode: 1
; LDSByteSize: 2048 bytes/workgroup (compile time only)
; SGPRBlocks: 2
; VGPRBlocks: 2
; NumSGPRsForWavesPerEU: 24
; NumVGPRsForWavesPerEU: 20
; AccumOffset: 20
; Occupancy: 8
; WaveLimiterHint : 0
; COMPUTE_PGM_RSRC2:SCRATCH_EN: 0
; COMPUTE_PGM_RSRC2:USER_SGPR: 6
; COMPUTE_PGM_RSRC2:TRAP_HANDLER: 0
; COMPUTE_PGM_RSRC2:TGID_X_EN: 1
; COMPUTE_PGM_RSRC2:TGID_Y_EN: 0
; COMPUTE_PGM_RSRC2:TGID_Z_EN: 0
; COMPUTE_PGM_RSRC2:TIDIG_COMP_CNT: 0
; COMPUTE_PGM_RSRC3_GFX90A:ACCUM_OFFSET: 4
; COMPUTE_PGM_RSRC3_GFX90A:TG_SPLIT: 0
	.section	.text._ZN9rocsparseL14nnz_kernel_rowILi64ELi16Eli21rocsparse_complex_numIdEEEv16rocsparse_order_T2_S4_PKT3_lPT1_,"axG",@progbits,_ZN9rocsparseL14nnz_kernel_rowILi64ELi16Eli21rocsparse_complex_numIdEEEv16rocsparse_order_T2_S4_PKT3_lPT1_,comdat
	.globl	_ZN9rocsparseL14nnz_kernel_rowILi64ELi16Eli21rocsparse_complex_numIdEEEv16rocsparse_order_T2_S4_PKT3_lPT1_ ; -- Begin function _ZN9rocsparseL14nnz_kernel_rowILi64ELi16Eli21rocsparse_complex_numIdEEEv16rocsparse_order_T2_S4_PKT3_lPT1_
	.p2align	8
	.type	_ZN9rocsparseL14nnz_kernel_rowILi64ELi16Eli21rocsparse_complex_numIdEEEv16rocsparse_order_T2_S4_PKT3_lPT1_,@function
_ZN9rocsparseL14nnz_kernel_rowILi64ELi16Eli21rocsparse_complex_numIdEEEv16rocsparse_order_T2_S4_PKT3_lPT1_: ; @_ZN9rocsparseL14nnz_kernel_rowILi64ELi16Eli21rocsparse_complex_numIdEEEv16rocsparse_order_T2_S4_PKT3_lPT1_
; %bb.0:
	s_load_dword s0, s[4:5], 0x34
	s_load_dwordx2 s[34:35], s[4:5], 0x20
	s_load_dwordx8 s[24:31], s[4:5], 0x0
	v_and_b32_e32 v1, 0x3ff, v0
	v_bfe_u32 v0, v0, 10, 10
	s_waitcnt lgkmcnt(0)
	s_and_b32 s0, s0, 0xffff
	v_mad_u32_u24 v33, v0, s0, v1
	s_ashr_i32 s0, s26, 31
	s_lshr_b32 s0, s0, 26
	s_mov_b32 s8, 0
	v_and_b32_e32 v35, 63, v33
	s_lshl_b32 s27, s6, 8
	s_add_i32 s33, s26, s0
	v_lshrrev_b32_e32 v0, 4, v33
	s_mov_b32 s9, s8
	v_or_b32_e32 v18, s27, v35
	s_andn2_b32 s33, s33, 63
	v_and_b32_e32 v16, 0x7ffffc, v0
	s_mov_b32 s10, s8
	s_mov_b32 s11, s8
	;; [unrolled: 1-line block ×6, first 2 shown]
	v_pk_mov_b32 v[0:1], s[8:9], s[8:9] op_sel:[0,1]
	v_cmp_gt_i32_e32 vcc, s33, v16
	v_pk_mov_b32 v[2:3], s[10:11], s[10:11] op_sel:[0,1]
	v_pk_mov_b32 v[4:5], s[12:13], s[12:13] op_sel:[0,1]
	;; [unrolled: 1-line block ×3, first 2 shown]
	v_or_b32_e32 v36, 64, v18
	s_and_saveexec_b64 s[36:37], vcc
	s_cbranch_execz .LBB22_28
; %bb.1:
	v_or_b32_e32 v0, 0x80, v18
	v_cmp_gt_i32_e64 s[4:5], s25, v0
	v_or_b32_e32 v0, 0xc0, v18
	v_cmp_gt_i32_e64 s[6:7], s25, v0
	v_add_u32_e32 v0, s27, v35
	v_ashrrev_i32_e32 v1, 31, v0
	v_mul_lo_u32 v4, s30, v1
	v_mul_lo_u32 v5, s31, v0
	v_mad_u64_u32 v[2:3], s[16:17], s30, v0, 0
	v_add3_u32 v3, v3, v4, v5
	v_lshrrev_b32_e32 v8, 6, v33
	v_lshlrev_b64 v[2:3], 4, v[2:3]
	v_and_b32_e32 v9, 0x7ffffc0, v33
	v_lshlrev_b32_e32 v10, 2, v8
	v_add_co_u32_e32 v20, vcc, v2, v9
	v_or_b32_e32 v5, 3, v10
	v_addc_co_u32_e32 v17, vcc, 0, v3, vcc
	v_mad_u64_u32 v[2:3], s[16:17], s30, v5, 0
	v_mov_b32_e32 v4, v3
	v_mad_u64_u32 v[4:5], s[16:17], s31, v5, v[4:5]
	v_mov_b32_e32 v3, v4
	v_lshlrev_b64 v[2:3], 4, v[2:3]
	v_lshlrev_b64 v[4:5], 4, v[0:1]
	v_add_u32_e32 v1, 64, v0
	v_add_co_u32_e32 v22, vcc, v2, v4
	v_ashrrev_i32_e32 v2, 31, v1
	v_addc_co_u32_e32 v19, vcc, v3, v5, vcc
	v_mul_lo_u32 v6, s30, v2
	v_mul_lo_u32 v7, s31, v1
	v_mad_u64_u32 v[2:3], s[16:17], s30, v1, 0
	v_add3_u32 v3, v3, v6, v7
	v_lshlrev_b64 v[2:3], 4, v[2:3]
	v_add_co_u32_e32 v24, vcc, v2, v9
	v_or_b32_e32 v1, 2, v10
	v_addc_co_u32_e32 v21, vcc, 0, v3, vcc
	v_mad_u64_u32 v[2:3], s[16:17], s30, v1, 0
	v_mov_b32_e32 v6, v3
	v_mad_u64_u32 v[6:7], s[16:17], s31, v1, v[6:7]
	v_mov_b32_e32 v3, v6
	v_lshlrev_b64 v[2:3], 4, v[2:3]
	v_add_u32_e32 v1, 0x80, v0
	v_add_co_u32_e32 v26, vcc, v2, v4
	v_ashrrev_i32_e32 v2, 31, v1
	v_addc_co_u32_e32 v23, vcc, v3, v5, vcc
	v_mul_lo_u32 v6, s30, v2
	v_mul_lo_u32 v7, s31, v1
	v_mad_u64_u32 v[2:3], s[16:17], s30, v1, 0
	v_add3_u32 v3, v3, v6, v7
	v_lshlrev_b64 v[2:3], 4, v[2:3]
	v_add_co_u32_e32 v28, vcc, v2, v9
	v_addc_co_u32_e32 v25, vcc, 0, v3, vcc
	v_pk_mov_b32 v[2:3], s[30:31], s[30:31] op_sel:[0,1]
	v_mad_u64_u32 v[2:3], s[16:17], s30, v10, v[2:3]
	v_mov_b32_e32 v6, v3
	v_mad_u64_u32 v[6:7], s[16:17], s31, v10, v[6:7]
	v_mov_b32_e32 v3, v6
	v_lshlrev_b64 v[2:3], 4, v[2:3]
	v_add_u32_e32 v0, 0xc0, v0
	v_add_co_u32_e32 v30, vcc, v2, v4
	v_ashrrev_i32_e32 v1, 31, v0
	v_addc_co_u32_e32 v27, vcc, v3, v5, vcc
	v_mul_lo_u32 v2, s30, v1
	v_mul_lo_u32 v3, s31, v0
	v_mad_u64_u32 v[0:1], s[16:17], s30, v0, 0
	v_add3_u32 v1, v1, v2, v3
	v_lshlrev_b64 v[0:1], 4, v[0:1]
	v_add_co_u32_e32 v32, vcc, v0, v9
	v_addc_co_u32_e32 v29, vcc, 0, v1, vcc
	v_mad_u64_u32 v[0:1], s[16:17], s30, v8, 0
	v_mov_b32_e32 v2, v1
	v_mad_u64_u32 v[2:3], s[16:17], s31, v8, v[2:3]
	v_mov_b32_e32 v1, v2
	v_lshlrev_b64 v[0:1], 6, v[0:1]
	v_add_co_u32_e32 v34, vcc, v0, v4
	s_cmp_lg_u32 s24, 1
	v_addc_co_u32_e32 v31, vcc, v1, v5, vcc
	v_pk_mov_b32 v[0:1], s[8:9], s[8:9] op_sel:[0,1]
	s_cselect_b64 s[38:39], -1, 0
	v_cmp_gt_i32_e64 s[0:1], s25, v18
	v_cmp_gt_i32_e64 s[2:3], s25, v36
	s_lshl_b64 s[40:41], s[30:31], 10
	s_mov_b64 s[42:43], 0
	v_pk_mov_b32 v[2:3], s[10:11], s[10:11] op_sel:[0,1]
	v_pk_mov_b32 v[4:5], s[12:13], s[12:13] op_sel:[0,1]
	v_pk_mov_b32 v[6:7], s[14:15], s[14:15] op_sel:[0,1]
	s_branch .LBB22_4
.LBB22_2:                               ;   in Loop: Header=BB22_4 Depth=1
	v_pk_mov_b32 v[0:1], v[8:9], v[8:9] op_sel:[0,1]
	v_pk_mov_b32 v[2:3], v[10:11], v[10:11] op_sel:[0,1]
	;; [unrolled: 1-line block ×4, first 2 shown]
.LBB22_3:                               ;   in Loop: Header=BB22_4 Depth=1
	s_or_b64 exec, exec, s[22:23]
	v_add_co_u32_e32 v20, vcc, 0x400, v20
	v_addc_co_u32_e32 v17, vcc, 0, v17, vcc
	v_mov_b32_e32 v8, s41
	v_add_co_u32_e32 v22, vcc, s40, v22
	v_addc_co_u32_e32 v19, vcc, v19, v8, vcc
	v_add_co_u32_e32 v24, vcc, 0x400, v24
	v_addc_co_u32_e32 v21, vcc, 0, v21, vcc
	;; [unrolled: 2-line block ×5, first 2 shown]
	v_add_co_u32_e32 v32, vcc, 0x400, v32
	v_add_u32_e32 v16, 64, v16
	v_addc_co_u32_e32 v29, vcc, 0, v29, vcc
	v_cmp_le_i32_e32 vcc, s33, v16
	s_or_b64 s[42:43], vcc, s[42:43]
	v_add_co_u32_e32 v34, vcc, s40, v34
	v_addc_co_u32_e32 v31, vcc, v31, v8, vcc
	s_andn2_b64 exec, exec, s[42:43]
	s_cbranch_execz .LBB22_27
.LBB22_4:                               ; =>This Inner Loop Header: Depth=1
	v_cndmask_b32_e64 v8, 0, 1, s[38:39]
	v_cmp_ne_u32_e64 s[8:9], 1, v8
	s_and_saveexec_b64 s[44:45], s[0:1]
	s_cbranch_execnz .LBB22_8
; %bb.5:                                ;   in Loop: Header=BB22_4 Depth=1
	s_or_b64 exec, exec, s[44:45]
	s_and_saveexec_b64 s[44:45], s[2:3]
	s_cbranch_execnz .LBB22_13
.LBB22_6:                               ;   in Loop: Header=BB22_4 Depth=1
	s_or_b64 exec, exec, s[44:45]
	s_and_saveexec_b64 s[44:45], s[4:5]
	s_cbranch_execnz .LBB22_18
.LBB22_7:                               ;   in Loop: Header=BB22_4 Depth=1
	s_or_b64 exec, exec, s[44:45]
	s_and_saveexec_b64 s[22:23], s[6:7]
	s_cbranch_execz .LBB22_3
	s_branch .LBB22_23
.LBB22_8:                               ;   in Loop: Header=BB22_4 Depth=1
	s_and_b64 vcc, exec, s[8:9]
	s_cbranch_vccnz .LBB22_10
; %bb.9:                                ;   in Loop: Header=BB22_4 Depth=1
	v_mov_b32_e32 v9, s29
	v_add_co_u32_e32 v8, vcc, s28, v20
	v_addc_co_u32_e32 v9, vcc, v9, v17, vcc
	global_load_dwordx4 v[38:41], v[8:9], off
	global_load_dwordx4 v[42:45], v[8:9], off offset:16
	global_load_dwordx4 v[46:49], v[8:9], off offset:32
	;; [unrolled: 1-line block ×3, first 2 shown]
	v_add_co_u32_e32 v8, vcc, 1, v0
	v_addc_co_u32_e32 v9, vcc, 0, v1, vcc
	v_mov_b32_e32 v10, v2
	v_mov_b32_e32 v11, v3
	;; [unrolled: 1-line block ×6, first 2 shown]
	s_waitcnt vmcnt(3)
	v_cmp_neq_f64_e32 vcc, 0, v[38:39]
	v_cmp_neq_f64_e64 s[10:11], 0, v[40:41]
	s_or_b64 vcc, vcc, s[10:11]
	v_cndmask_b32_e32 v8, v0, v8, vcc
	v_cndmask_b32_e32 v9, v1, v9, vcc
	v_add_co_u32_e32 v37, vcc, 1, v8
	s_waitcnt vmcnt(2)
	v_cmp_neq_f64_e64 s[12:13], 0, v[42:43]
	v_cmp_neq_f64_e64 s[14:15], 0, v[44:45]
	v_addc_co_u32_e32 v38, vcc, 0, v9, vcc
	s_or_b64 vcc, s[12:13], s[14:15]
	v_cndmask_b32_e32 v8, v8, v37, vcc
	v_cndmask_b32_e32 v9, v9, v38, vcc
	v_add_co_u32_e32 v37, vcc, 1, v8
	s_waitcnt vmcnt(1)
	v_cmp_neq_f64_e64 s[16:17], 0, v[46:47]
	v_cmp_neq_f64_e64 s[18:19], 0, v[48:49]
	v_addc_co_u32_e32 v38, vcc, 0, v9, vcc
	s_or_b64 vcc, s[16:17], s[18:19]
	;; [unrolled: 8-line block ×3, first 2 shown]
	v_cndmask_b32_e32 v9, v9, v38, vcc
	v_cndmask_b32_e32 v8, v8, v37, vcc
	s_cbranch_execz .LBB22_11
	s_branch .LBB22_12
.LBB22_10:                              ;   in Loop: Header=BB22_4 Depth=1
                                        ; implicit-def: $vgpr8_vgpr9_vgpr10_vgpr11_vgpr12_vgpr13_vgpr14_vgpr15
.LBB22_11:                              ;   in Loop: Header=BB22_4 Depth=1
	v_mov_b32_e32 v37, s29
	v_add_co_u32_e32 v38, vcc, s28, v34
	v_addc_co_u32_e32 v39, vcc, v37, v31, vcc
	v_add_co_u32_e32 v40, vcc, s28, v30
	v_addc_co_u32_e32 v41, vcc, v37, v27, vcc
	global_load_dwordx4 v[8:11], v[38:39], off
	global_load_dwordx4 v[12:15], v[40:41], off
	v_add_co_u32_e32 v38, vcc, s28, v26
	v_addc_co_u32_e32 v39, vcc, v37, v23, vcc
	global_load_dwordx4 v[38:41], v[38:39], off
	v_add_co_u32_e32 v42, vcc, s28, v22
	v_addc_co_u32_e32 v43, vcc, v37, v19, vcc
	;; [unrolled: 3-line block ×3, first 2 shown]
	s_waitcnt vmcnt(3)
	v_cmp_neq_f64_e32 vcc, 0, v[8:9]
	v_cmp_neq_f64_e64 s[10:11], 0, v[10:11]
	s_or_b64 vcc, vcc, s[10:11]
	v_cndmask_b32_e32 v0, v0, v37, vcc
	v_cndmask_b32_e32 v1, v1, v46, vcc
	v_add_co_u32_e32 v8, vcc, 1, v0
	s_waitcnt vmcnt(2)
	v_cmp_neq_f64_e64 s[12:13], 0, v[12:13]
	v_cmp_neq_f64_e64 s[14:15], 0, v[14:15]
	v_addc_co_u32_e32 v9, vcc, 0, v1, vcc
	s_or_b64 vcc, s[12:13], s[14:15]
	v_cndmask_b32_e32 v0, v0, v8, vcc
	v_cndmask_b32_e32 v1, v1, v9, vcc
	v_add_co_u32_e32 v8, vcc, 1, v0
	s_waitcnt vmcnt(1)
	v_cmp_neq_f64_e64 s[16:17], 0, v[38:39]
	v_cmp_neq_f64_e64 s[18:19], 0, v[40:41]
	v_addc_co_u32_e32 v9, vcc, 0, v1, vcc
	s_or_b64 vcc, s[16:17], s[18:19]
	;; [unrolled: 8-line block ×3, first 2 shown]
	v_cndmask_b32_e32 v1, v1, v9, vcc
	v_cndmask_b32_e32 v0, v0, v8, vcc
	v_pk_mov_b32 v[14:15], v[6:7], v[6:7] op_sel:[0,1]
	v_pk_mov_b32 v[12:13], v[4:5], v[4:5] op_sel:[0,1]
	;; [unrolled: 1-line block ×4, first 2 shown]
.LBB22_12:                              ;   in Loop: Header=BB22_4 Depth=1
	v_pk_mov_b32 v[0:1], v[8:9], v[8:9] op_sel:[0,1]
	v_pk_mov_b32 v[2:3], v[10:11], v[10:11] op_sel:[0,1]
	;; [unrolled: 1-line block ×4, first 2 shown]
	s_or_b64 exec, exec, s[44:45]
	s_and_saveexec_b64 s[44:45], s[2:3]
	s_cbranch_execz .LBB22_6
.LBB22_13:                              ;   in Loop: Header=BB22_4 Depth=1
	s_and_b64 vcc, exec, s[8:9]
	s_cbranch_vccnz .LBB22_15
; %bb.14:                               ;   in Loop: Header=BB22_4 Depth=1
	v_mov_b32_e32 v9, s29
	v_add_co_u32_e32 v8, vcc, s28, v24
	v_addc_co_u32_e32 v9, vcc, v9, v21, vcc
	global_load_dwordx4 v[38:41], v[8:9], off
	global_load_dwordx4 v[42:45], v[8:9], off offset:16
	global_load_dwordx4 v[46:49], v[8:9], off offset:32
	;; [unrolled: 1-line block ×3, first 2 shown]
	v_add_co_u32_e32 v10, vcc, 1, v2
	v_addc_co_u32_e32 v11, vcc, 0, v3, vcc
	v_mov_b32_e32 v8, v0
	v_mov_b32_e32 v9, v1
	;; [unrolled: 1-line block ×6, first 2 shown]
	s_waitcnt vmcnt(3)
	v_cmp_neq_f64_e32 vcc, 0, v[38:39]
	v_cmp_neq_f64_e64 s[10:11], 0, v[40:41]
	s_or_b64 vcc, vcc, s[10:11]
	v_cndmask_b32_e32 v10, v2, v10, vcc
	v_cndmask_b32_e32 v11, v3, v11, vcc
	v_add_co_u32_e32 v37, vcc, 1, v10
	s_waitcnt vmcnt(2)
	v_cmp_neq_f64_e64 s[12:13], 0, v[42:43]
	v_cmp_neq_f64_e64 s[14:15], 0, v[44:45]
	v_addc_co_u32_e32 v38, vcc, 0, v11, vcc
	s_or_b64 vcc, s[12:13], s[14:15]
	v_cndmask_b32_e32 v10, v10, v37, vcc
	v_cndmask_b32_e32 v11, v11, v38, vcc
	v_add_co_u32_e32 v37, vcc, 1, v10
	s_waitcnt vmcnt(1)
	v_cmp_neq_f64_e64 s[16:17], 0, v[46:47]
	v_cmp_neq_f64_e64 s[18:19], 0, v[48:49]
	v_addc_co_u32_e32 v38, vcc, 0, v11, vcc
	s_or_b64 vcc, s[16:17], s[18:19]
	;; [unrolled: 8-line block ×3, first 2 shown]
	v_cndmask_b32_e32 v11, v11, v38, vcc
	v_cndmask_b32_e32 v10, v10, v37, vcc
	s_cbranch_execz .LBB22_16
	s_branch .LBB22_17
.LBB22_15:                              ;   in Loop: Header=BB22_4 Depth=1
                                        ; implicit-def: $vgpr8_vgpr9_vgpr10_vgpr11_vgpr12_vgpr13_vgpr14_vgpr15
.LBB22_16:                              ;   in Loop: Header=BB22_4 Depth=1
	v_mov_b32_e32 v37, s29
	v_add_co_u32_e32 v38, vcc, s28, v34
	v_addc_co_u32_e32 v39, vcc, v37, v31, vcc
	v_add_co_u32_e32 v40, vcc, s28, v30
	v_addc_co_u32_e32 v41, vcc, v37, v27, vcc
	global_load_dwordx4 v[8:11], v[38:39], off offset:1024
	global_load_dwordx4 v[12:15], v[40:41], off offset:1024
	v_add_co_u32_e32 v38, vcc, s28, v26
	v_addc_co_u32_e32 v39, vcc, v37, v23, vcc
	global_load_dwordx4 v[38:41], v[38:39], off offset:1024
	v_add_co_u32_e32 v42, vcc, s28, v22
	v_addc_co_u32_e32 v43, vcc, v37, v19, vcc
	;; [unrolled: 3-line block ×3, first 2 shown]
	s_waitcnt vmcnt(3)
	v_cmp_neq_f64_e32 vcc, 0, v[8:9]
	v_cmp_neq_f64_e64 s[10:11], 0, v[10:11]
	s_or_b64 vcc, vcc, s[10:11]
	v_cndmask_b32_e32 v2, v2, v37, vcc
	v_cndmask_b32_e32 v3, v3, v46, vcc
	v_add_co_u32_e32 v8, vcc, 1, v2
	s_waitcnt vmcnt(2)
	v_cmp_neq_f64_e64 s[12:13], 0, v[12:13]
	v_cmp_neq_f64_e64 s[14:15], 0, v[14:15]
	v_addc_co_u32_e32 v9, vcc, 0, v3, vcc
	s_or_b64 vcc, s[12:13], s[14:15]
	v_cndmask_b32_e32 v2, v2, v8, vcc
	v_cndmask_b32_e32 v3, v3, v9, vcc
	v_add_co_u32_e32 v8, vcc, 1, v2
	s_waitcnt vmcnt(1)
	v_cmp_neq_f64_e64 s[16:17], 0, v[38:39]
	v_cmp_neq_f64_e64 s[18:19], 0, v[40:41]
	v_addc_co_u32_e32 v9, vcc, 0, v3, vcc
	s_or_b64 vcc, s[16:17], s[18:19]
	;; [unrolled: 8-line block ×3, first 2 shown]
	v_cndmask_b32_e32 v3, v3, v9, vcc
	v_cndmask_b32_e32 v2, v2, v8, vcc
	v_pk_mov_b32 v[14:15], v[6:7], v[6:7] op_sel:[0,1]
	v_pk_mov_b32 v[12:13], v[4:5], v[4:5] op_sel:[0,1]
	;; [unrolled: 1-line block ×4, first 2 shown]
.LBB22_17:                              ;   in Loop: Header=BB22_4 Depth=1
	v_pk_mov_b32 v[0:1], v[8:9], v[8:9] op_sel:[0,1]
	v_pk_mov_b32 v[2:3], v[10:11], v[10:11] op_sel:[0,1]
	;; [unrolled: 1-line block ×4, first 2 shown]
	s_or_b64 exec, exec, s[44:45]
	s_and_saveexec_b64 s[44:45], s[4:5]
	s_cbranch_execz .LBB22_7
.LBB22_18:                              ;   in Loop: Header=BB22_4 Depth=1
	s_and_b64 vcc, exec, s[8:9]
	s_cbranch_vccnz .LBB22_20
; %bb.19:                               ;   in Loop: Header=BB22_4 Depth=1
	v_mov_b32_e32 v9, s29
	v_add_co_u32_e32 v8, vcc, s28, v28
	v_addc_co_u32_e32 v9, vcc, v9, v25, vcc
	global_load_dwordx4 v[38:41], v[8:9], off
	global_load_dwordx4 v[42:45], v[8:9], off offset:16
	global_load_dwordx4 v[46:49], v[8:9], off offset:32
	;; [unrolled: 1-line block ×3, first 2 shown]
	v_add_co_u32_e32 v12, vcc, 1, v4
	v_addc_co_u32_e32 v13, vcc, 0, v5, vcc
	v_mov_b32_e32 v8, v0
	v_mov_b32_e32 v9, v1
	;; [unrolled: 1-line block ×6, first 2 shown]
	s_waitcnt vmcnt(3)
	v_cmp_neq_f64_e32 vcc, 0, v[38:39]
	v_cmp_neq_f64_e64 s[10:11], 0, v[40:41]
	s_or_b64 vcc, vcc, s[10:11]
	v_cndmask_b32_e32 v12, v4, v12, vcc
	v_cndmask_b32_e32 v13, v5, v13, vcc
	v_add_co_u32_e32 v37, vcc, 1, v12
	s_waitcnt vmcnt(2)
	v_cmp_neq_f64_e64 s[12:13], 0, v[42:43]
	v_cmp_neq_f64_e64 s[14:15], 0, v[44:45]
	v_addc_co_u32_e32 v38, vcc, 0, v13, vcc
	s_or_b64 vcc, s[12:13], s[14:15]
	v_cndmask_b32_e32 v12, v12, v37, vcc
	v_cndmask_b32_e32 v13, v13, v38, vcc
	v_add_co_u32_e32 v37, vcc, 1, v12
	s_waitcnt vmcnt(1)
	v_cmp_neq_f64_e64 s[16:17], 0, v[46:47]
	v_cmp_neq_f64_e64 s[18:19], 0, v[48:49]
	v_addc_co_u32_e32 v38, vcc, 0, v13, vcc
	s_or_b64 vcc, s[16:17], s[18:19]
	;; [unrolled: 8-line block ×3, first 2 shown]
	v_cndmask_b32_e32 v13, v13, v38, vcc
	v_cndmask_b32_e32 v12, v12, v37, vcc
	s_cbranch_execz .LBB22_21
	s_branch .LBB22_22
.LBB22_20:                              ;   in Loop: Header=BB22_4 Depth=1
                                        ; implicit-def: $vgpr8_vgpr9_vgpr10_vgpr11_vgpr12_vgpr13_vgpr14_vgpr15
.LBB22_21:                              ;   in Loop: Header=BB22_4 Depth=1
	v_mov_b32_e32 v37, s29
	v_add_co_u32_e32 v38, vcc, s28, v34
	v_addc_co_u32_e32 v39, vcc, v37, v31, vcc
	v_add_co_u32_e32 v40, vcc, s28, v30
	v_addc_co_u32_e32 v41, vcc, v37, v27, vcc
	global_load_dwordx4 v[8:11], v[38:39], off offset:2048
	global_load_dwordx4 v[12:15], v[40:41], off offset:2048
	v_add_co_u32_e32 v38, vcc, s28, v26
	v_addc_co_u32_e32 v39, vcc, v37, v23, vcc
	global_load_dwordx4 v[38:41], v[38:39], off offset:2048
	v_add_co_u32_e32 v42, vcc, s28, v22
	v_addc_co_u32_e32 v43, vcc, v37, v19, vcc
	;; [unrolled: 3-line block ×3, first 2 shown]
	s_waitcnt vmcnt(3)
	v_cmp_neq_f64_e32 vcc, 0, v[8:9]
	v_cmp_neq_f64_e64 s[10:11], 0, v[10:11]
	s_or_b64 vcc, vcc, s[10:11]
	v_cndmask_b32_e32 v4, v4, v37, vcc
	v_cndmask_b32_e32 v5, v5, v46, vcc
	v_add_co_u32_e32 v8, vcc, 1, v4
	s_waitcnt vmcnt(2)
	v_cmp_neq_f64_e64 s[12:13], 0, v[12:13]
	v_cmp_neq_f64_e64 s[14:15], 0, v[14:15]
	v_addc_co_u32_e32 v9, vcc, 0, v5, vcc
	s_or_b64 vcc, s[12:13], s[14:15]
	v_cndmask_b32_e32 v4, v4, v8, vcc
	v_cndmask_b32_e32 v5, v5, v9, vcc
	v_add_co_u32_e32 v8, vcc, 1, v4
	s_waitcnt vmcnt(1)
	v_cmp_neq_f64_e64 s[16:17], 0, v[38:39]
	v_cmp_neq_f64_e64 s[18:19], 0, v[40:41]
	v_addc_co_u32_e32 v9, vcc, 0, v5, vcc
	s_or_b64 vcc, s[16:17], s[18:19]
	;; [unrolled: 8-line block ×3, first 2 shown]
	v_cndmask_b32_e32 v5, v5, v9, vcc
	v_cndmask_b32_e32 v4, v4, v8, vcc
	v_pk_mov_b32 v[14:15], v[6:7], v[6:7] op_sel:[0,1]
	v_pk_mov_b32 v[12:13], v[4:5], v[4:5] op_sel:[0,1]
	;; [unrolled: 1-line block ×4, first 2 shown]
.LBB22_22:                              ;   in Loop: Header=BB22_4 Depth=1
	v_pk_mov_b32 v[0:1], v[8:9], v[8:9] op_sel:[0,1]
	v_pk_mov_b32 v[2:3], v[10:11], v[10:11] op_sel:[0,1]
	;; [unrolled: 1-line block ×4, first 2 shown]
	s_or_b64 exec, exec, s[44:45]
	s_and_saveexec_b64 s[22:23], s[6:7]
	s_cbranch_execz .LBB22_3
.LBB22_23:                              ;   in Loop: Header=BB22_4 Depth=1
	s_and_b64 vcc, exec, s[8:9]
	s_cbranch_vccnz .LBB22_25
; %bb.24:                               ;   in Loop: Header=BB22_4 Depth=1
	v_mov_b32_e32 v9, s29
	v_add_co_u32_e32 v8, vcc, s28, v32
	v_addc_co_u32_e32 v9, vcc, v9, v29, vcc
	global_load_dwordx4 v[38:41], v[8:9], off
	global_load_dwordx4 v[42:45], v[8:9], off offset:16
	global_load_dwordx4 v[46:49], v[8:9], off offset:32
	;; [unrolled: 1-line block ×3, first 2 shown]
	v_add_co_u32_e32 v14, vcc, 1, v6
	v_addc_co_u32_e32 v15, vcc, 0, v7, vcc
	v_mov_b32_e32 v8, v0
	v_mov_b32_e32 v9, v1
	;; [unrolled: 1-line block ×6, first 2 shown]
	s_waitcnt vmcnt(3)
	v_cmp_neq_f64_e32 vcc, 0, v[38:39]
	v_cmp_neq_f64_e64 s[8:9], 0, v[40:41]
	s_or_b64 vcc, vcc, s[8:9]
	v_cndmask_b32_e32 v14, v6, v14, vcc
	v_cndmask_b32_e32 v15, v7, v15, vcc
	v_add_co_u32_e32 v37, vcc, 1, v14
	s_waitcnt vmcnt(2)
	v_cmp_neq_f64_e64 s[10:11], 0, v[42:43]
	v_cmp_neq_f64_e64 s[12:13], 0, v[44:45]
	v_addc_co_u32_e32 v38, vcc, 0, v15, vcc
	s_or_b64 vcc, s[10:11], s[12:13]
	v_cndmask_b32_e32 v14, v14, v37, vcc
	v_cndmask_b32_e32 v15, v15, v38, vcc
	v_add_co_u32_e32 v37, vcc, 1, v14
	s_waitcnt vmcnt(1)
	v_cmp_neq_f64_e64 s[14:15], 0, v[46:47]
	v_cmp_neq_f64_e64 s[16:17], 0, v[48:49]
	v_addc_co_u32_e32 v38, vcc, 0, v15, vcc
	s_or_b64 vcc, s[14:15], s[16:17]
	;; [unrolled: 8-line block ×3, first 2 shown]
	v_cndmask_b32_e32 v15, v15, v38, vcc
	v_cndmask_b32_e32 v14, v14, v37, vcc
	s_cbranch_execnz .LBB22_2
	s_branch .LBB22_26
.LBB22_25:                              ;   in Loop: Header=BB22_4 Depth=1
                                        ; implicit-def: $vgpr8_vgpr9_vgpr10_vgpr11_vgpr12_vgpr13_vgpr14_vgpr15
.LBB22_26:                              ;   in Loop: Header=BB22_4 Depth=1
	v_mov_b32_e32 v37, s29
	v_add_co_u32_e32 v38, vcc, s28, v34
	v_addc_co_u32_e32 v39, vcc, v37, v31, vcc
	v_add_co_u32_e32 v40, vcc, s28, v30
	v_addc_co_u32_e32 v41, vcc, v37, v27, vcc
	global_load_dwordx4 v[8:11], v[38:39], off offset:3072
	global_load_dwordx4 v[12:15], v[40:41], off offset:3072
	v_add_co_u32_e32 v38, vcc, s28, v26
	v_addc_co_u32_e32 v39, vcc, v37, v23, vcc
	global_load_dwordx4 v[38:41], v[38:39], off offset:3072
	v_add_co_u32_e32 v42, vcc, s28, v22
	v_addc_co_u32_e32 v43, vcc, v37, v19, vcc
	;; [unrolled: 3-line block ×3, first 2 shown]
	s_waitcnt vmcnt(3)
	v_cmp_neq_f64_e32 vcc, 0, v[8:9]
	v_cmp_neq_f64_e64 s[8:9], 0, v[10:11]
	s_or_b64 vcc, vcc, s[8:9]
	v_cndmask_b32_e32 v6, v6, v37, vcc
	v_cndmask_b32_e32 v7, v7, v46, vcc
	v_add_co_u32_e32 v8, vcc, 1, v6
	s_waitcnt vmcnt(2)
	v_cmp_neq_f64_e64 s[10:11], 0, v[12:13]
	v_cmp_neq_f64_e64 s[12:13], 0, v[14:15]
	v_addc_co_u32_e32 v9, vcc, 0, v7, vcc
	s_or_b64 vcc, s[10:11], s[12:13]
	v_cndmask_b32_e32 v6, v6, v8, vcc
	v_cndmask_b32_e32 v7, v7, v9, vcc
	v_add_co_u32_e32 v8, vcc, 1, v6
	s_waitcnt vmcnt(1)
	v_cmp_neq_f64_e64 s[14:15], 0, v[38:39]
	v_cmp_neq_f64_e64 s[16:17], 0, v[40:41]
	v_addc_co_u32_e32 v9, vcc, 0, v7, vcc
	s_or_b64 vcc, s[14:15], s[16:17]
	;; [unrolled: 8-line block ×3, first 2 shown]
	v_cndmask_b32_e32 v7, v7, v9, vcc
	v_cndmask_b32_e32 v6, v6, v8, vcc
	v_pk_mov_b32 v[14:15], v[6:7], v[6:7] op_sel:[0,1]
	v_pk_mov_b32 v[12:13], v[4:5], v[4:5] op_sel:[0,1]
	;; [unrolled: 1-line block ×4, first 2 shown]
	s_branch .LBB22_2
.LBB22_27:
	s_or_b64 exec, exec, s[42:43]
.LBB22_28:
	s_or_b64 exec, exec, s[36:37]
	s_sub_i32 s0, s26, s33
	s_cmp_lt_i32 s0, 1
	s_cbranch_scc1 .LBB22_126
; %bb.29:
	v_mov_b32_e32 v17, 0
	v_lshlrev_b64 v[8:9], 4, v[16:17]
	s_cmp_eq_u32 s24, 1
	v_mov_b32_e32 v10, s29
	v_add_co_u32_e32 v14, vcc, s28, v8
	s_cselect_b64 s[4:5], -1, 0
	s_cmp_lg_u32 s24, 1
	v_addc_co_u32_e32 v15, vcc, v10, v9, vcc
	s_cselect_b64 s[2:3], -1, 0
	v_cmp_gt_i32_e32 vcc, s25, v18
	v_ashrrev_i32_e32 v19, 31, v18
	s_and_saveexec_b64 s[6:7], vcc
	s_cbranch_execz .LBB22_53
; %bb.30:
	v_mul_lo_u32 v10, v18, s31
	v_mul_lo_u32 v11, v19, s30
	v_mad_u64_u32 v[8:9], s[0:1], v18, s30, 0
	v_add3_u32 v9, v9, v10, v11
	v_lshlrev_b64 v[8:9], 4, v[8:9]
	v_add_co_u32_e32 v8, vcc, v14, v8
	v_addc_co_u32_e32 v9, vcc, v15, v9, vcc
	v_lshlrev_b64 v[10:11], 4, v[18:19]
	v_mov_b32_e32 v12, s29
	v_add_co_u32_e32 v17, vcc, s28, v10
	v_addc_co_u32_e32 v20, vcc, v12, v11, vcc
	v_cmp_gt_i32_e32 vcc, s26, v16
	s_and_saveexec_b64 s[8:9], vcc
	s_cbranch_execz .LBB22_34
; %bb.31:
	s_andn2_b64 vcc, exec, s[4:5]
	v_pk_mov_b32 v[10:11], v[8:9], v[8:9] op_sel:[0,1]
	s_cbranch_vccnz .LBB22_33
; %bb.32:
	v_mad_u64_u32 v[10:11], s[0:1], v16, s30, 0
	v_mov_b32_e32 v12, v11
	v_mad_u64_u32 v[12:13], s[0:1], v16, s31, v[12:13]
	v_mov_b32_e32 v11, v12
	v_lshlrev_b64 v[10:11], 4, v[10:11]
	v_add_co_u32_e32 v10, vcc, v17, v10
	v_addc_co_u32_e32 v11, vcc, v20, v11, vcc
.LBB22_33:
	global_load_dwordx4 v[10:13], v[10:11], off
	s_waitcnt vmcnt(0)
	v_cmp_neq_f64_e32 vcc, 0, v[10:11]
	v_cmp_neq_f64_e64 s[0:1], 0, v[12:13]
	s_or_b64 s[0:1], vcc, s[0:1]
	v_cndmask_b32_e64 v10, 0, 1, s[0:1]
	v_add_co_u32_e32 v0, vcc, v0, v10
	v_addc_co_u32_e32 v1, vcc, 0, v1, vcc
.LBB22_34:
	s_or_b64 exec, exec, s[8:9]
	v_or_b32_e32 v21, 1, v16
	v_cmp_gt_i32_e32 vcc, s26, v21
	s_and_saveexec_b64 s[8:9], vcc
	s_cbranch_execz .LBB22_40
; %bb.35:
	s_andn2_b64 vcc, exec, s[2:3]
	s_cbranch_vccnz .LBB22_37
; %bb.36:
	v_add_co_u32_e32 v10, vcc, 16, v8
	v_addc_co_u32_e32 v11, vcc, 0, v9, vcc
	v_add_co_u32_e32 v12, vcc, 24, v8
	v_addc_co_u32_e32 v13, vcc, 0, v9, vcc
	s_cbranch_execz .LBB22_38
	s_branch .LBB22_39
.LBB22_37:
                                        ; implicit-def: $vgpr10_vgpr11
                                        ; implicit-def: $vgpr12_vgpr13
.LBB22_38:
	v_mad_u64_u32 v[10:11], s[0:1], v21, s30, 0
	v_mov_b32_e32 v12, v11
	v_mad_u64_u32 v[12:13], s[0:1], v21, s31, v[12:13]
	v_mov_b32_e32 v11, v12
	v_lshlrev_b64 v[10:11], 4, v[10:11]
	v_add_co_u32_e32 v10, vcc, v17, v10
	v_addc_co_u32_e32 v11, vcc, v20, v11, vcc
	v_add_co_u32_e32 v12, vcc, 8, v10
	v_addc_co_u32_e32 v13, vcc, 0, v11, vcc
.LBB22_39:
	global_load_dwordx2 v[22:23], v[10:11], off
	global_load_dwordx2 v[24:25], v[12:13], off
	s_waitcnt vmcnt(1)
	v_cmp_neq_f64_e32 vcc, 0, v[22:23]
	s_waitcnt vmcnt(0)
	v_cmp_neq_f64_e64 s[0:1], 0, v[24:25]
	s_or_b64 s[0:1], vcc, s[0:1]
	v_cndmask_b32_e64 v10, 0, 1, s[0:1]
	v_add_co_u32_e32 v0, vcc, v0, v10
	v_addc_co_u32_e32 v1, vcc, 0, v1, vcc
.LBB22_40:
	s_or_b64 exec, exec, s[8:9]
	v_or_b32_e32 v21, 2, v16
	v_cmp_gt_i32_e32 vcc, s26, v21
	s_and_saveexec_b64 s[8:9], vcc
	s_cbranch_execz .LBB22_46
; %bb.41:
	s_andn2_b64 vcc, exec, s[2:3]
	s_cbranch_vccnz .LBB22_43
; %bb.42:
	v_add_co_u32_e32 v10, vcc, 32, v8
	v_addc_co_u32_e32 v11, vcc, 0, v9, vcc
	v_add_co_u32_e32 v12, vcc, 40, v8
	v_addc_co_u32_e32 v13, vcc, 0, v9, vcc
	s_cbranch_execz .LBB22_44
	s_branch .LBB22_45
.LBB22_43:
                                        ; implicit-def: $vgpr10_vgpr11
                                        ; implicit-def: $vgpr12_vgpr13
.LBB22_44:
	v_mad_u64_u32 v[10:11], s[0:1], v21, s30, 0
	v_mov_b32_e32 v12, v11
	v_mad_u64_u32 v[12:13], s[0:1], v21, s31, v[12:13]
	v_mov_b32_e32 v11, v12
	v_lshlrev_b64 v[10:11], 4, v[10:11]
	v_add_co_u32_e32 v10, vcc, v17, v10
	v_addc_co_u32_e32 v11, vcc, v20, v11, vcc
	v_add_co_u32_e32 v12, vcc, 8, v10
	v_addc_co_u32_e32 v13, vcc, 0, v11, vcc
.LBB22_45:
	global_load_dwordx2 v[22:23], v[10:11], off
	global_load_dwordx2 v[24:25], v[12:13], off
	s_waitcnt vmcnt(1)
	v_cmp_neq_f64_e32 vcc, 0, v[22:23]
	s_waitcnt vmcnt(0)
	v_cmp_neq_f64_e64 s[0:1], 0, v[24:25]
	s_or_b64 s[0:1], vcc, s[0:1]
	v_cndmask_b32_e64 v10, 0, 1, s[0:1]
	v_add_co_u32_e32 v0, vcc, v0, v10
	v_addc_co_u32_e32 v1, vcc, 0, v1, vcc
.LBB22_46:
	s_or_b64 exec, exec, s[8:9]
	v_or_b32_e32 v12, 3, v16
	v_cmp_gt_i32_e32 vcc, s26, v12
	s_and_saveexec_b64 s[8:9], vcc
	s_cbranch_execz .LBB22_52
; %bb.47:
	s_andn2_b64 vcc, exec, s[2:3]
	s_cbranch_vccnz .LBB22_49
; %bb.48:
	v_add_co_u32_e32 v10, vcc, 48, v8
	v_addc_co_u32_e32 v11, vcc, 0, v9, vcc
	v_add_co_u32_e32 v8, vcc, 56, v8
	v_addc_co_u32_e32 v9, vcc, 0, v9, vcc
	s_cbranch_execz .LBB22_50
	s_branch .LBB22_51
.LBB22_49:
                                        ; implicit-def: $vgpr10_vgpr11
                                        ; implicit-def: $vgpr8_vgpr9
.LBB22_50:
	v_mad_u64_u32 v[8:9], s[0:1], v12, s30, 0
	v_mov_b32_e32 v10, v9
	v_mad_u64_u32 v[10:11], s[0:1], v12, s31, v[10:11]
	v_mov_b32_e32 v9, v10
	v_lshlrev_b64 v[8:9], 4, v[8:9]
	v_add_co_u32_e32 v10, vcc, v17, v8
	v_addc_co_u32_e32 v11, vcc, v20, v9, vcc
	v_add_co_u32_e32 v8, vcc, 8, v10
	v_addc_co_u32_e32 v9, vcc, 0, v11, vcc
.LBB22_51:
	global_load_dwordx2 v[12:13], v[10:11], off
	global_load_dwordx2 v[20:21], v[8:9], off
	s_waitcnt vmcnt(1)
	v_cmp_neq_f64_e32 vcc, 0, v[12:13]
	s_waitcnt vmcnt(0)
	v_cmp_neq_f64_e64 s[0:1], 0, v[20:21]
	s_or_b64 s[0:1], vcc, s[0:1]
	v_cndmask_b32_e64 v8, 0, 1, s[0:1]
	v_add_co_u32_e32 v0, vcc, v0, v8
	v_addc_co_u32_e32 v1, vcc, 0, v1, vcc
.LBB22_52:
	s_or_b64 exec, exec, s[8:9]
.LBB22_53:
	s_or_b64 exec, exec, s[6:7]
	v_cmp_gt_i32_e32 vcc, s25, v36
	s_and_saveexec_b64 s[6:7], vcc
	s_cbranch_execz .LBB22_77
; %bb.54:
	v_ashrrev_i32_e32 v8, 31, v36
	v_mul_lo_u32 v10, v36, s31
	v_mul_lo_u32 v11, v8, s30
	v_mad_u64_u32 v[8:9], s[0:1], v36, s30, 0
	v_add3_u32 v9, v9, v10, v11
	v_lshlrev_b64 v[8:9], 4, v[8:9]
	v_add_co_u32_e32 v8, vcc, v14, v8
	v_addc_co_u32_e32 v9, vcc, v15, v9, vcc
	v_lshlrev_b64 v[10:11], 4, v[18:19]
	v_mov_b32_e32 v12, s29
	v_add_co_u32_e32 v17, vcc, s28, v10
	v_addc_co_u32_e32 v20, vcc, v12, v11, vcc
	v_cmp_gt_i32_e32 vcc, s26, v16
	s_and_saveexec_b64 s[8:9], vcc
	s_cbranch_execz .LBB22_58
; %bb.55:
	s_andn2_b64 vcc, exec, s[4:5]
	v_pk_mov_b32 v[10:11], v[8:9], v[8:9] op_sel:[0,1]
	s_cbranch_vccnz .LBB22_57
; %bb.56:
	v_mad_u64_u32 v[10:11], s[0:1], v16, s30, 0
	v_mov_b32_e32 v12, v11
	v_mad_u64_u32 v[12:13], s[0:1], v16, s31, v[12:13]
	v_mov_b32_e32 v11, v12
	v_lshlrev_b64 v[10:11], 4, v[10:11]
	v_add_co_u32_e32 v10, vcc, v17, v10
	v_addc_co_u32_e32 v11, vcc, v20, v11, vcc
	v_add_co_u32_e32 v10, vcc, 0x400, v10
	v_addc_co_u32_e32 v11, vcc, 0, v11, vcc
.LBB22_57:
	global_load_dwordx4 v[10:13], v[10:11], off
	s_waitcnt vmcnt(0)
	v_cmp_neq_f64_e32 vcc, 0, v[10:11]
	v_cmp_neq_f64_e64 s[0:1], 0, v[12:13]
	s_or_b64 s[0:1], vcc, s[0:1]
	v_cndmask_b32_e64 v10, 0, 1, s[0:1]
	v_add_co_u32_e32 v2, vcc, v2, v10
	v_addc_co_u32_e32 v3, vcc, 0, v3, vcc
.LBB22_58:
	s_or_b64 exec, exec, s[8:9]
	v_or_b32_e32 v21, 1, v16
	v_cmp_gt_i32_e32 vcc, s26, v21
	s_and_saveexec_b64 s[8:9], vcc
	s_cbranch_execz .LBB22_64
; %bb.59:
	s_andn2_b64 vcc, exec, s[2:3]
	s_cbranch_vccnz .LBB22_61
; %bb.60:
	v_add_co_u32_e32 v10, vcc, 16, v8
	v_addc_co_u32_e32 v11, vcc, 0, v9, vcc
	v_add_co_u32_e32 v12, vcc, 24, v8
	v_addc_co_u32_e32 v13, vcc, 0, v9, vcc
	s_cbranch_execz .LBB22_62
	s_branch .LBB22_63
.LBB22_61:
                                        ; implicit-def: $vgpr10_vgpr11
                                        ; implicit-def: $vgpr12_vgpr13
.LBB22_62:
	v_mad_u64_u32 v[10:11], s[0:1], v21, s30, 0
	v_mov_b32_e32 v12, v11
	v_mad_u64_u32 v[12:13], s[0:1], v21, s31, v[12:13]
	v_mov_b32_e32 v11, v12
	v_lshlrev_b64 v[10:11], 4, v[10:11]
	v_add_co_u32_e32 v12, vcc, v17, v10
	v_addc_co_u32_e32 v13, vcc, v20, v11, vcc
	v_add_co_u32_e32 v10, vcc, 0x400, v12
	v_addc_co_u32_e32 v11, vcc, 0, v13, vcc
	v_add_co_u32_e32 v12, vcc, 0x408, v12
	v_addc_co_u32_e32 v13, vcc, 0, v13, vcc
.LBB22_63:
	global_load_dwordx2 v[22:23], v[10:11], off
	global_load_dwordx2 v[24:25], v[12:13], off
	s_waitcnt vmcnt(1)
	v_cmp_neq_f64_e32 vcc, 0, v[22:23]
	s_waitcnt vmcnt(0)
	v_cmp_neq_f64_e64 s[0:1], 0, v[24:25]
	s_or_b64 s[0:1], vcc, s[0:1]
	v_cndmask_b32_e64 v10, 0, 1, s[0:1]
	v_add_co_u32_e32 v2, vcc, v2, v10
	v_addc_co_u32_e32 v3, vcc, 0, v3, vcc
.LBB22_64:
	s_or_b64 exec, exec, s[8:9]
	v_or_b32_e32 v21, 2, v16
	v_cmp_gt_i32_e32 vcc, s26, v21
	s_and_saveexec_b64 s[8:9], vcc
	s_cbranch_execz .LBB22_70
; %bb.65:
	s_andn2_b64 vcc, exec, s[2:3]
	s_cbranch_vccnz .LBB22_67
; %bb.66:
	v_add_co_u32_e32 v10, vcc, 32, v8
	v_addc_co_u32_e32 v11, vcc, 0, v9, vcc
	v_add_co_u32_e32 v12, vcc, 40, v8
	v_addc_co_u32_e32 v13, vcc, 0, v9, vcc
	s_cbranch_execz .LBB22_68
	s_branch .LBB22_69
.LBB22_67:
                                        ; implicit-def: $vgpr10_vgpr11
                                        ; implicit-def: $vgpr12_vgpr13
.LBB22_68:
	v_mad_u64_u32 v[10:11], s[0:1], v21, s30, 0
	v_mov_b32_e32 v12, v11
	v_mad_u64_u32 v[12:13], s[0:1], v21, s31, v[12:13]
	v_mov_b32_e32 v11, v12
	v_lshlrev_b64 v[10:11], 4, v[10:11]
	v_add_co_u32_e32 v12, vcc, v17, v10
	v_addc_co_u32_e32 v13, vcc, v20, v11, vcc
	v_add_co_u32_e32 v10, vcc, 0x400, v12
	v_addc_co_u32_e32 v11, vcc, 0, v13, vcc
	;; [unrolled: 2-line block ×3, first 2 shown]
.LBB22_69:
	global_load_dwordx2 v[22:23], v[10:11], off
	global_load_dwordx2 v[24:25], v[12:13], off
	s_waitcnt vmcnt(1)
	v_cmp_neq_f64_e32 vcc, 0, v[22:23]
	s_waitcnt vmcnt(0)
	v_cmp_neq_f64_e64 s[0:1], 0, v[24:25]
	s_or_b64 s[0:1], vcc, s[0:1]
	v_cndmask_b32_e64 v10, 0, 1, s[0:1]
	v_add_co_u32_e32 v2, vcc, v2, v10
	v_addc_co_u32_e32 v3, vcc, 0, v3, vcc
.LBB22_70:
	s_or_b64 exec, exec, s[8:9]
	v_or_b32_e32 v12, 3, v16
	v_cmp_gt_i32_e32 vcc, s26, v12
	s_and_saveexec_b64 s[8:9], vcc
	s_cbranch_execz .LBB22_76
; %bb.71:
	s_andn2_b64 vcc, exec, s[2:3]
	s_cbranch_vccnz .LBB22_73
; %bb.72:
	v_add_co_u32_e32 v10, vcc, 48, v8
	v_addc_co_u32_e32 v11, vcc, 0, v9, vcc
	v_add_co_u32_e32 v8, vcc, 56, v8
	v_addc_co_u32_e32 v9, vcc, 0, v9, vcc
	s_cbranch_execz .LBB22_74
	s_branch .LBB22_75
.LBB22_73:
                                        ; implicit-def: $vgpr10_vgpr11
                                        ; implicit-def: $vgpr8_vgpr9
.LBB22_74:
	v_mad_u64_u32 v[8:9], s[0:1], v12, s30, 0
	v_mov_b32_e32 v10, v9
	v_mad_u64_u32 v[10:11], s[0:1], v12, s31, v[10:11]
	v_mov_b32_e32 v9, v10
	v_lshlrev_b64 v[8:9], 4, v[8:9]
	v_add_co_u32_e32 v8, vcc, v17, v8
	v_addc_co_u32_e32 v9, vcc, v20, v9, vcc
	v_add_co_u32_e32 v10, vcc, 0x400, v8
	v_addc_co_u32_e32 v11, vcc, 0, v9, vcc
	;; [unrolled: 2-line block ×3, first 2 shown]
.LBB22_75:
	global_load_dwordx2 v[12:13], v[10:11], off
	global_load_dwordx2 v[20:21], v[8:9], off
	s_waitcnt vmcnt(1)
	v_cmp_neq_f64_e32 vcc, 0, v[12:13]
	s_waitcnt vmcnt(0)
	v_cmp_neq_f64_e64 s[0:1], 0, v[20:21]
	s_or_b64 s[0:1], vcc, s[0:1]
	v_cndmask_b32_e64 v8, 0, 1, s[0:1]
	v_add_co_u32_e32 v2, vcc, v2, v8
	v_addc_co_u32_e32 v3, vcc, 0, v3, vcc
.LBB22_76:
	s_or_b64 exec, exec, s[8:9]
.LBB22_77:
	s_or_b64 exec, exec, s[6:7]
	v_or_b32_e32 v8, 0x80, v18
	v_cmp_gt_i32_e32 vcc, s25, v8
	s_and_saveexec_b64 s[6:7], vcc
	s_cbranch_execz .LBB22_101
; %bb.78:
	v_ashrrev_i32_e32 v9, 31, v8
	v_mul_lo_u32 v10, v8, s31
	v_mul_lo_u32 v11, v9, s30
	v_mad_u64_u32 v[8:9], s[0:1], v8, s30, 0
	v_add3_u32 v9, v9, v10, v11
	v_lshlrev_b64 v[8:9], 4, v[8:9]
	v_add_co_u32_e32 v8, vcc, v14, v8
	v_addc_co_u32_e32 v9, vcc, v15, v9, vcc
	v_lshlrev_b64 v[10:11], 4, v[18:19]
	v_mov_b32_e32 v12, s29
	v_add_co_u32_e32 v17, vcc, s28, v10
	v_addc_co_u32_e32 v20, vcc, v12, v11, vcc
	v_cmp_gt_i32_e32 vcc, s26, v16
	s_and_saveexec_b64 s[8:9], vcc
	s_cbranch_execz .LBB22_82
; %bb.79:
	s_andn2_b64 vcc, exec, s[4:5]
	v_pk_mov_b32 v[10:11], v[8:9], v[8:9] op_sel:[0,1]
	s_cbranch_vccnz .LBB22_81
; %bb.80:
	v_mad_u64_u32 v[10:11], s[0:1], v16, s30, 0
	v_mov_b32_e32 v12, v11
	v_mad_u64_u32 v[12:13], s[0:1], v16, s31, v[12:13]
	v_mov_b32_e32 v11, v12
	v_lshlrev_b64 v[10:11], 4, v[10:11]
	v_add_co_u32_e32 v10, vcc, v17, v10
	v_addc_co_u32_e32 v11, vcc, v20, v11, vcc
	v_add_co_u32_e32 v10, vcc, 0x800, v10
	v_addc_co_u32_e32 v11, vcc, 0, v11, vcc
.LBB22_81:
	global_load_dwordx4 v[10:13], v[10:11], off
	s_waitcnt vmcnt(0)
	v_cmp_neq_f64_e32 vcc, 0, v[10:11]
	v_cmp_neq_f64_e64 s[0:1], 0, v[12:13]
	s_or_b64 s[0:1], vcc, s[0:1]
	v_cndmask_b32_e64 v10, 0, 1, s[0:1]
	v_add_co_u32_e32 v4, vcc, v4, v10
	v_addc_co_u32_e32 v5, vcc, 0, v5, vcc
.LBB22_82:
	s_or_b64 exec, exec, s[8:9]
	v_or_b32_e32 v21, 1, v16
	v_cmp_gt_i32_e32 vcc, s26, v21
	s_and_saveexec_b64 s[8:9], vcc
	s_cbranch_execz .LBB22_88
; %bb.83:
	s_andn2_b64 vcc, exec, s[2:3]
	s_cbranch_vccnz .LBB22_85
; %bb.84:
	v_add_co_u32_e32 v10, vcc, 16, v8
	v_addc_co_u32_e32 v11, vcc, 0, v9, vcc
	v_add_co_u32_e32 v12, vcc, 24, v8
	v_addc_co_u32_e32 v13, vcc, 0, v9, vcc
	s_cbranch_execz .LBB22_86
	s_branch .LBB22_87
.LBB22_85:
                                        ; implicit-def: $vgpr10_vgpr11
                                        ; implicit-def: $vgpr12_vgpr13
.LBB22_86:
	v_mad_u64_u32 v[10:11], s[0:1], v21, s30, 0
	v_mov_b32_e32 v12, v11
	v_mad_u64_u32 v[12:13], s[0:1], v21, s31, v[12:13]
	v_mov_b32_e32 v11, v12
	v_lshlrev_b64 v[10:11], 4, v[10:11]
	v_add_co_u32_e32 v12, vcc, v17, v10
	v_addc_co_u32_e32 v13, vcc, v20, v11, vcc
	v_add_co_u32_e32 v10, vcc, 0x800, v12
	v_addc_co_u32_e32 v11, vcc, 0, v13, vcc
	v_add_co_u32_e32 v12, vcc, 0x808, v12
	v_addc_co_u32_e32 v13, vcc, 0, v13, vcc
.LBB22_87:
	global_load_dwordx2 v[22:23], v[10:11], off
	global_load_dwordx2 v[24:25], v[12:13], off
	s_waitcnt vmcnt(1)
	v_cmp_neq_f64_e32 vcc, 0, v[22:23]
	s_waitcnt vmcnt(0)
	v_cmp_neq_f64_e64 s[0:1], 0, v[24:25]
	s_or_b64 s[0:1], vcc, s[0:1]
	v_cndmask_b32_e64 v10, 0, 1, s[0:1]
	v_add_co_u32_e32 v4, vcc, v4, v10
	v_addc_co_u32_e32 v5, vcc, 0, v5, vcc
.LBB22_88:
	s_or_b64 exec, exec, s[8:9]
	v_or_b32_e32 v21, 2, v16
	v_cmp_gt_i32_e32 vcc, s26, v21
	s_and_saveexec_b64 s[8:9], vcc
	s_cbranch_execz .LBB22_94
; %bb.89:
	s_andn2_b64 vcc, exec, s[2:3]
	s_cbranch_vccnz .LBB22_91
; %bb.90:
	v_add_co_u32_e32 v10, vcc, 32, v8
	v_addc_co_u32_e32 v11, vcc, 0, v9, vcc
	v_add_co_u32_e32 v12, vcc, 40, v8
	v_addc_co_u32_e32 v13, vcc, 0, v9, vcc
	s_cbranch_execz .LBB22_92
	s_branch .LBB22_93
.LBB22_91:
                                        ; implicit-def: $vgpr10_vgpr11
                                        ; implicit-def: $vgpr12_vgpr13
.LBB22_92:
	v_mad_u64_u32 v[10:11], s[0:1], v21, s30, 0
	v_mov_b32_e32 v12, v11
	v_mad_u64_u32 v[12:13], s[0:1], v21, s31, v[12:13]
	v_mov_b32_e32 v11, v12
	v_lshlrev_b64 v[10:11], 4, v[10:11]
	v_add_co_u32_e32 v12, vcc, v17, v10
	v_addc_co_u32_e32 v13, vcc, v20, v11, vcc
	v_add_co_u32_e32 v10, vcc, 0x800, v12
	v_addc_co_u32_e32 v11, vcc, 0, v13, vcc
	;; [unrolled: 2-line block ×3, first 2 shown]
.LBB22_93:
	global_load_dwordx2 v[22:23], v[10:11], off
	global_load_dwordx2 v[24:25], v[12:13], off
	s_waitcnt vmcnt(1)
	v_cmp_neq_f64_e32 vcc, 0, v[22:23]
	s_waitcnt vmcnt(0)
	v_cmp_neq_f64_e64 s[0:1], 0, v[24:25]
	s_or_b64 s[0:1], vcc, s[0:1]
	v_cndmask_b32_e64 v10, 0, 1, s[0:1]
	v_add_co_u32_e32 v4, vcc, v4, v10
	v_addc_co_u32_e32 v5, vcc, 0, v5, vcc
.LBB22_94:
	s_or_b64 exec, exec, s[8:9]
	v_or_b32_e32 v12, 3, v16
	v_cmp_gt_i32_e32 vcc, s26, v12
	s_and_saveexec_b64 s[8:9], vcc
	s_cbranch_execz .LBB22_100
; %bb.95:
	s_andn2_b64 vcc, exec, s[2:3]
	s_cbranch_vccnz .LBB22_97
; %bb.96:
	v_add_co_u32_e32 v10, vcc, 48, v8
	v_addc_co_u32_e32 v11, vcc, 0, v9, vcc
	v_add_co_u32_e32 v8, vcc, 56, v8
	v_addc_co_u32_e32 v9, vcc, 0, v9, vcc
	s_cbranch_execz .LBB22_98
	s_branch .LBB22_99
.LBB22_97:
                                        ; implicit-def: $vgpr10_vgpr11
                                        ; implicit-def: $vgpr8_vgpr9
.LBB22_98:
	v_mad_u64_u32 v[8:9], s[0:1], v12, s30, 0
	v_mov_b32_e32 v10, v9
	v_mad_u64_u32 v[10:11], s[0:1], v12, s31, v[10:11]
	v_mov_b32_e32 v9, v10
	v_lshlrev_b64 v[8:9], 4, v[8:9]
	v_add_co_u32_e32 v8, vcc, v17, v8
	v_addc_co_u32_e32 v9, vcc, v20, v9, vcc
	v_add_co_u32_e32 v10, vcc, 0x800, v8
	v_addc_co_u32_e32 v11, vcc, 0, v9, vcc
	;; [unrolled: 2-line block ×3, first 2 shown]
.LBB22_99:
	global_load_dwordx2 v[12:13], v[10:11], off
	global_load_dwordx2 v[20:21], v[8:9], off
	s_waitcnt vmcnt(1)
	v_cmp_neq_f64_e32 vcc, 0, v[12:13]
	s_waitcnt vmcnt(0)
	v_cmp_neq_f64_e64 s[0:1], 0, v[20:21]
	s_or_b64 s[0:1], vcc, s[0:1]
	v_cndmask_b32_e64 v8, 0, 1, s[0:1]
	v_add_co_u32_e32 v4, vcc, v4, v8
	v_addc_co_u32_e32 v5, vcc, 0, v5, vcc
.LBB22_100:
	s_or_b64 exec, exec, s[8:9]
.LBB22_101:
	s_or_b64 exec, exec, s[6:7]
	v_or_b32_e32 v8, 0xc0, v18
	v_cmp_gt_i32_e32 vcc, s25, v8
	s_and_saveexec_b64 s[6:7], vcc
	s_cbranch_execz .LBB22_125
; %bb.102:
	v_ashrrev_i32_e32 v9, 31, v8
	v_mul_lo_u32 v10, v8, s31
	v_mul_lo_u32 v11, v9, s30
	v_mad_u64_u32 v[8:9], s[0:1], v8, s30, 0
	v_add3_u32 v9, v9, v10, v11
	v_lshlrev_b64 v[8:9], 4, v[8:9]
	v_add_co_u32_e32 v8, vcc, v14, v8
	v_addc_co_u32_e32 v9, vcc, v15, v9, vcc
	v_lshlrev_b64 v[10:11], 4, v[18:19]
	v_mov_b32_e32 v12, s29
	v_add_co_u32_e32 v14, vcc, s28, v10
	v_addc_co_u32_e32 v15, vcc, v12, v11, vcc
	v_cmp_gt_i32_e32 vcc, s26, v16
	s_and_saveexec_b64 s[8:9], vcc
	s_cbranch_execz .LBB22_106
; %bb.103:
	s_andn2_b64 vcc, exec, s[4:5]
	v_pk_mov_b32 v[10:11], v[8:9], v[8:9] op_sel:[0,1]
	s_cbranch_vccnz .LBB22_105
; %bb.104:
	v_mad_u64_u32 v[10:11], s[0:1], v16, s30, 0
	v_mov_b32_e32 v12, v11
	v_mad_u64_u32 v[12:13], s[0:1], v16, s31, v[12:13]
	v_mov_b32_e32 v11, v12
	v_lshlrev_b64 v[10:11], 4, v[10:11]
	v_add_co_u32_e32 v10, vcc, v14, v10
	v_addc_co_u32_e32 v11, vcc, v15, v11, vcc
	v_add_co_u32_e32 v10, vcc, 0xc00, v10
	v_addc_co_u32_e32 v11, vcc, 0, v11, vcc
.LBB22_105:
	global_load_dwordx4 v[10:13], v[10:11], off
	s_waitcnt vmcnt(0)
	v_cmp_neq_f64_e32 vcc, 0, v[10:11]
	v_cmp_neq_f64_e64 s[0:1], 0, v[12:13]
	s_or_b64 s[0:1], vcc, s[0:1]
	v_cndmask_b32_e64 v10, 0, 1, s[0:1]
	v_add_co_u32_e32 v6, vcc, v6, v10
	v_addc_co_u32_e32 v7, vcc, 0, v7, vcc
.LBB22_106:
	s_or_b64 exec, exec, s[8:9]
	v_or_b32_e32 v17, 1, v16
	v_cndmask_b32_e64 v10, 0, 1, s[2:3]
	v_cmp_gt_i32_e32 vcc, s26, v17
	v_cmp_ne_u32_e64 s[0:1], 1, v10
	s_and_saveexec_b64 s[4:5], vcc
	s_cbranch_execz .LBB22_112
; %bb.107:
	s_and_b64 vcc, exec, s[0:1]
	s_cbranch_vccnz .LBB22_109
; %bb.108:
	v_add_co_u32_e32 v10, vcc, 16, v8
	v_addc_co_u32_e32 v11, vcc, 0, v9, vcc
	v_add_co_u32_e32 v12, vcc, 24, v8
	v_addc_co_u32_e32 v13, vcc, 0, v9, vcc
	s_cbranch_execz .LBB22_110
	s_branch .LBB22_111
.LBB22_109:
                                        ; implicit-def: $vgpr10_vgpr11
                                        ; implicit-def: $vgpr12_vgpr13
.LBB22_110:
	v_mad_u64_u32 v[10:11], s[2:3], v17, s30, 0
	v_mov_b32_e32 v12, v11
	v_mad_u64_u32 v[12:13], s[2:3], v17, s31, v[12:13]
	v_mov_b32_e32 v11, v12
	v_lshlrev_b64 v[10:11], 4, v[10:11]
	v_add_co_u32_e32 v12, vcc, v14, v10
	v_addc_co_u32_e32 v13, vcc, v15, v11, vcc
	v_add_co_u32_e32 v10, vcc, 0xc00, v12
	v_addc_co_u32_e32 v11, vcc, 0, v13, vcc
	;; [unrolled: 2-line block ×3, first 2 shown]
.LBB22_111:
	global_load_dwordx2 v[18:19], v[10:11], off
	global_load_dwordx2 v[20:21], v[12:13], off
	s_waitcnt vmcnt(1)
	v_cmp_neq_f64_e32 vcc, 0, v[18:19]
	s_waitcnt vmcnt(0)
	v_cmp_neq_f64_e64 s[2:3], 0, v[20:21]
	s_or_b64 s[2:3], vcc, s[2:3]
	v_cndmask_b32_e64 v10, 0, 1, s[2:3]
	v_add_co_u32_e32 v6, vcc, v6, v10
	v_addc_co_u32_e32 v7, vcc, 0, v7, vcc
.LBB22_112:
	s_or_b64 exec, exec, s[4:5]
	v_or_b32_e32 v17, 2, v16
	v_cmp_gt_i32_e32 vcc, s26, v17
	s_and_saveexec_b64 s[4:5], vcc
	s_cbranch_execz .LBB22_118
; %bb.113:
	s_and_b64 vcc, exec, s[0:1]
	s_cbranch_vccnz .LBB22_115
; %bb.114:
	v_add_co_u32_e32 v10, vcc, 32, v8
	v_addc_co_u32_e32 v11, vcc, 0, v9, vcc
	v_add_co_u32_e32 v12, vcc, 40, v8
	v_addc_co_u32_e32 v13, vcc, 0, v9, vcc
	s_cbranch_execz .LBB22_116
	s_branch .LBB22_117
.LBB22_115:
                                        ; implicit-def: $vgpr10_vgpr11
                                        ; implicit-def: $vgpr12_vgpr13
.LBB22_116:
	v_mad_u64_u32 v[10:11], s[2:3], v17, s30, 0
	v_mov_b32_e32 v12, v11
	v_mad_u64_u32 v[12:13], s[2:3], v17, s31, v[12:13]
	v_mov_b32_e32 v11, v12
	v_lshlrev_b64 v[10:11], 4, v[10:11]
	v_add_co_u32_e32 v12, vcc, v14, v10
	v_addc_co_u32_e32 v13, vcc, v15, v11, vcc
	v_add_co_u32_e32 v10, vcc, 0xc00, v12
	v_addc_co_u32_e32 v11, vcc, 0, v13, vcc
	;; [unrolled: 2-line block ×3, first 2 shown]
.LBB22_117:
	global_load_dwordx2 v[18:19], v[10:11], off
	global_load_dwordx2 v[20:21], v[12:13], off
	s_waitcnt vmcnt(1)
	v_cmp_neq_f64_e32 vcc, 0, v[18:19]
	s_waitcnt vmcnt(0)
	v_cmp_neq_f64_e64 s[2:3], 0, v[20:21]
	s_or_b64 s[2:3], vcc, s[2:3]
	v_cndmask_b32_e64 v10, 0, 1, s[2:3]
	v_add_co_u32_e32 v6, vcc, v6, v10
	v_addc_co_u32_e32 v7, vcc, 0, v7, vcc
.LBB22_118:
	s_or_b64 exec, exec, s[4:5]
	v_or_b32_e32 v12, 3, v16
	v_cmp_gt_i32_e32 vcc, s26, v12
	s_and_saveexec_b64 s[2:3], vcc
	s_cbranch_execz .LBB22_124
; %bb.119:
	s_and_b64 vcc, exec, s[0:1]
	s_cbranch_vccnz .LBB22_121
; %bb.120:
	v_add_co_u32_e32 v10, vcc, 48, v8
	v_addc_co_u32_e32 v11, vcc, 0, v9, vcc
	v_add_co_u32_e32 v8, vcc, 56, v8
	v_addc_co_u32_e32 v9, vcc, 0, v9, vcc
	s_cbranch_execz .LBB22_122
	s_branch .LBB22_123
.LBB22_121:
                                        ; implicit-def: $vgpr10_vgpr11
                                        ; implicit-def: $vgpr8_vgpr9
.LBB22_122:
	v_mad_u64_u32 v[8:9], s[0:1], v12, s30, 0
	v_mov_b32_e32 v10, v9
	v_mad_u64_u32 v[10:11], s[0:1], v12, s31, v[10:11]
	v_mov_b32_e32 v9, v10
	v_lshlrev_b64 v[8:9], 4, v[8:9]
	v_add_co_u32_e32 v8, vcc, v14, v8
	v_addc_co_u32_e32 v9, vcc, v15, v9, vcc
	v_add_co_u32_e32 v10, vcc, 0xc00, v8
	v_addc_co_u32_e32 v11, vcc, 0, v9, vcc
	;; [unrolled: 2-line block ×3, first 2 shown]
.LBB22_123:
	global_load_dwordx2 v[12:13], v[10:11], off
	global_load_dwordx2 v[14:15], v[8:9], off
	s_waitcnt vmcnt(1)
	v_cmp_neq_f64_e32 vcc, 0, v[12:13]
	s_waitcnt vmcnt(0)
	v_cmp_neq_f64_e64 s[0:1], 0, v[14:15]
	s_or_b64 s[0:1], vcc, s[0:1]
	v_cndmask_b32_e64 v8, 0, 1, s[0:1]
	v_add_co_u32_e32 v6, vcc, v6, v8
	v_addc_co_u32_e32 v7, vcc, 0, v7, vcc
.LBB22_124:
	s_or_b64 exec, exec, s[2:3]
.LBB22_125:
	s_or_b64 exec, exec, s[6:7]
.LBB22_126:
	v_lshlrev_b32_e32 v8, 2, v33
	s_mov_b32 s0, 0x1fffff00
	v_and_or_b32 v8, v8, s0, v35
	s_movk_i32 s0, 0x100
	v_lshlrev_b32_e32 v8, 3, v8
	v_cmp_gt_u32_e32 vcc, s0, v33
	ds_write2st64_b64 v8, v[0:1], v[2:3] offset1:1
	ds_write2st64_b64 v8, v[4:5], v[6:7] offset0:2 offset1:3
	s_waitcnt lgkmcnt(0)
	s_barrier
	s_and_saveexec_b64 s[0:1], vcc
	s_cbranch_execz .LBB22_129
; %bb.127:
	v_lshlrev_b32_e32 v1, 3, v33
	ds_read2st64_b64 v[2:5], v1 offset1:4
	ds_read2st64_b64 v[6:9], v1 offset0:8 offset1:12
	v_add_u32_e32 v0, s27, v33
	s_waitcnt lgkmcnt(1)
	v_add_co_u32_e32 v2, vcc, v2, v4
	v_addc_co_u32_e32 v3, vcc, v3, v5, vcc
	s_waitcnt lgkmcnt(0)
	v_add_co_u32_e32 v6, vcc, v2, v6
	v_addc_co_u32_e32 v7, vcc, v3, v7, vcc
	ds_read2st64_b64 v[2:5], v1 offset0:16 offset1:20
	v_add_co_u32_e32 v6, vcc, v6, v8
	v_addc_co_u32_e32 v7, vcc, v7, v9, vcc
	s_waitcnt lgkmcnt(0)
	v_add_co_u32_e32 v2, vcc, v6, v2
	v_addc_co_u32_e32 v3, vcc, v7, v3, vcc
	ds_read2st64_b64 v[6:9], v1 offset0:24 offset1:28
	;; [unrolled: 6-line block ×6, first 2 shown]
	v_add_co_u32_e32 v2, vcc, v2, v4
	v_addc_co_u32_e32 v3, vcc, v3, v5, vcc
	s_waitcnt lgkmcnt(0)
	v_add_co_u32_e32 v2, vcc, v2, v6
	v_addc_co_u32_e32 v3, vcc, v3, v7, vcc
	v_add_co_u32_e32 v2, vcc, v2, v8
	v_addc_co_u32_e32 v3, vcc, v3, v9, vcc
	v_cmp_gt_i32_e32 vcc, s25, v0
	ds_write_b64 v1, v[2:3]
	s_and_b64 exec, exec, vcc
	s_cbranch_execz .LBB22_129
; %bb.128:
	v_ashrrev_i32_e32 v1, 31, v0
	v_lshlrev_b64 v[0:1], 3, v[0:1]
	v_mov_b32_e32 v4, s35
	v_add_co_u32_e32 v0, vcc, s34, v0
	v_addc_co_u32_e32 v1, vcc, v4, v1, vcc
	global_store_dwordx2 v[0:1], v[2:3], off
.LBB22_129:
	s_endpgm
	.section	.rodata,"a",@progbits
	.p2align	6, 0x0
	.amdhsa_kernel _ZN9rocsparseL14nnz_kernel_rowILi64ELi16Eli21rocsparse_complex_numIdEEEv16rocsparse_order_T2_S4_PKT3_lPT1_
		.amdhsa_group_segment_fixed_size 32768
		.amdhsa_private_segment_fixed_size 0
		.amdhsa_kernarg_size 296
		.amdhsa_user_sgpr_count 6
		.amdhsa_user_sgpr_private_segment_buffer 1
		.amdhsa_user_sgpr_dispatch_ptr 0
		.amdhsa_user_sgpr_queue_ptr 0
		.amdhsa_user_sgpr_kernarg_segment_ptr 1
		.amdhsa_user_sgpr_dispatch_id 0
		.amdhsa_user_sgpr_flat_scratch_init 0
		.amdhsa_user_sgpr_kernarg_preload_length 0
		.amdhsa_user_sgpr_kernarg_preload_offset 0
		.amdhsa_user_sgpr_private_segment_size 0
		.amdhsa_uses_dynamic_stack 0
		.amdhsa_system_sgpr_private_segment_wavefront_offset 0
		.amdhsa_system_sgpr_workgroup_id_x 1
		.amdhsa_system_sgpr_workgroup_id_y 0
		.amdhsa_system_sgpr_workgroup_id_z 0
		.amdhsa_system_sgpr_workgroup_info 0
		.amdhsa_system_vgpr_workitem_id 1
		.amdhsa_next_free_vgpr 54
		.amdhsa_next_free_sgpr 46
		.amdhsa_accum_offset 56
		.amdhsa_reserve_vcc 1
		.amdhsa_reserve_flat_scratch 0
		.amdhsa_float_round_mode_32 0
		.amdhsa_float_round_mode_16_64 0
		.amdhsa_float_denorm_mode_32 3
		.amdhsa_float_denorm_mode_16_64 3
		.amdhsa_dx10_clamp 1
		.amdhsa_ieee_mode 1
		.amdhsa_fp16_overflow 0
		.amdhsa_tg_split 0
		.amdhsa_exception_fp_ieee_invalid_op 0
		.amdhsa_exception_fp_denorm_src 0
		.amdhsa_exception_fp_ieee_div_zero 0
		.amdhsa_exception_fp_ieee_overflow 0
		.amdhsa_exception_fp_ieee_underflow 0
		.amdhsa_exception_fp_ieee_inexact 0
		.amdhsa_exception_int_div_zero 0
	.end_amdhsa_kernel
	.section	.text._ZN9rocsparseL14nnz_kernel_rowILi64ELi16Eli21rocsparse_complex_numIdEEEv16rocsparse_order_T2_S4_PKT3_lPT1_,"axG",@progbits,_ZN9rocsparseL14nnz_kernel_rowILi64ELi16Eli21rocsparse_complex_numIdEEEv16rocsparse_order_T2_S4_PKT3_lPT1_,comdat
.Lfunc_end22:
	.size	_ZN9rocsparseL14nnz_kernel_rowILi64ELi16Eli21rocsparse_complex_numIdEEEv16rocsparse_order_T2_S4_PKT3_lPT1_, .Lfunc_end22-_ZN9rocsparseL14nnz_kernel_rowILi64ELi16Eli21rocsparse_complex_numIdEEEv16rocsparse_order_T2_S4_PKT3_lPT1_
                                        ; -- End function
	.section	.AMDGPU.csdata,"",@progbits
; Kernel info:
; codeLenInByte = 6340
; NumSgprs: 50
; NumVgprs: 54
; NumAgprs: 0
; TotalNumVgprs: 54
; ScratchSize: 0
; MemoryBound: 0
; FloatMode: 240
; IeeeMode: 1
; LDSByteSize: 32768 bytes/workgroup (compile time only)
; SGPRBlocks: 6
; VGPRBlocks: 6
; NumSGPRsForWavesPerEU: 50
; NumVGPRsForWavesPerEU: 54
; AccumOffset: 56
; Occupancy: 8
; WaveLimiterHint : 0
; COMPUTE_PGM_RSRC2:SCRATCH_EN: 0
; COMPUTE_PGM_RSRC2:USER_SGPR: 6
; COMPUTE_PGM_RSRC2:TRAP_HANDLER: 0
; COMPUTE_PGM_RSRC2:TGID_X_EN: 1
; COMPUTE_PGM_RSRC2:TGID_Y_EN: 0
; COMPUTE_PGM_RSRC2:TGID_Z_EN: 0
; COMPUTE_PGM_RSRC2:TIDIG_COMP_CNT: 1
; COMPUTE_PGM_RSRC3_GFX90A:ACCUM_OFFSET: 13
; COMPUTE_PGM_RSRC3_GFX90A:TG_SPLIT: 0
	.section	.text._ZN9rocsparseL14nnz_kernel_colILi256Eli21rocsparse_complex_numIdEEEv16rocsparse_order_T1_S4_PKT2_lPT0_,"axG",@progbits,_ZN9rocsparseL14nnz_kernel_colILi256Eli21rocsparse_complex_numIdEEEv16rocsparse_order_T1_S4_PKT2_lPT0_,comdat
	.globl	_ZN9rocsparseL14nnz_kernel_colILi256Eli21rocsparse_complex_numIdEEEv16rocsparse_order_T1_S4_PKT2_lPT0_ ; -- Begin function _ZN9rocsparseL14nnz_kernel_colILi256Eli21rocsparse_complex_numIdEEEv16rocsparse_order_T1_S4_PKT2_lPT0_
	.p2align	8
	.type	_ZN9rocsparseL14nnz_kernel_colILi256Eli21rocsparse_complex_numIdEEEv16rocsparse_order_T1_S4_PKT2_lPT0_,@function
_ZN9rocsparseL14nnz_kernel_colILi256Eli21rocsparse_complex_numIdEEEv16rocsparse_order_T1_S4_PKT2_lPT0_: ; @_ZN9rocsparseL14nnz_kernel_colILi256Eli21rocsparse_complex_numIdEEEv16rocsparse_order_T1_S4_PKT2_lPT0_
; %bb.0:
	s_load_dwordx2 s[2:3], s[4:5], 0x0
	s_load_dwordx4 s[8:11], s[4:5], 0x10
	s_waitcnt lgkmcnt(0)
	s_ashr_i32 s0, s3, 31
	s_lshr_b32 s0, s0, 24
	s_add_i32 s0, s3, s0
	s_and_b32 s12, s0, 0xffffff00
	s_cmp_eq_u32 s2, 1
	s_cbranch_scc1 .LBB23_6
; %bb.1:
	s_cmpk_lt_i32 s3, 0x100
	v_pk_mov_b32 v[2:3], 0, 0
	s_cbranch_scc1 .LBB23_7
; %bb.2:
	v_mad_u64_u32 v[2:3], s[0:1], s10, v0, 0
	v_mov_b32_e32 v4, v3
	s_ashr_i32 s7, s6, 31
	v_mad_u64_u32 v[4:5], s[0:1], s11, v0, v[4:5]
	s_lshl_b64 s[0:1], s[6:7], 4
	v_mov_b32_e32 v3, v4
	s_add_u32 s0, s8, s0
	v_lshlrev_b64 v[2:3], 4, v[2:3]
	s_addc_u32 s1, s9, s1
	v_mov_b32_e32 v1, s1
	v_add_co_u32_e32 v2, vcc, s0, v2
	v_addc_co_u32_e32 v1, vcc, v1, v3, vcc
	v_add_co_u32_e32 v4, vcc, 8, v2
	s_lshl_b64 s[14:15], s[10:11], 12
	v_addc_co_u32_e32 v5, vcc, 0, v1, vcc
	s_mov_b32 s2, 0
	v_pk_mov_b32 v[2:3], 0, 0
	v_mov_b32_e32 v1, s15
	s_branch .LBB23_4
.LBB23_3:                               ;   in Loop: Header=BB23_4 Depth=1
	s_or_b64 exec, exec, s[16:17]
	s_addk_i32 s2, 0x100
	v_add_co_u32_e32 v4, vcc, s14, v4
	s_cmp_ge_i32 s2, s12
	v_addc_co_u32_e32 v5, vcc, v5, v1, vcc
	s_cbranch_scc1 .LBB23_7
.LBB23_4:                               ; =>This Inner Loop Header: Depth=1
	v_add_u32_e32 v6, s2, v0
	v_cmp_gt_i32_e32 vcc, s3, v6
	s_and_saveexec_b64 s[16:17], vcc
	s_cbranch_execz .LBB23_3
; %bb.5:                                ;   in Loop: Header=BB23_4 Depth=1
	global_load_dwordx4 v[6:9], v[4:5], off offset:-8
	s_waitcnt vmcnt(0)
	v_cmp_neq_f64_e32 vcc, 0, v[6:7]
	v_cmp_neq_f64_e64 s[0:1], 0, v[8:9]
	s_or_b64 s[0:1], vcc, s[0:1]
	v_cndmask_b32_e64 v6, 0, 1, s[0:1]
	v_add_co_u32_e32 v2, vcc, v2, v6
	v_addc_co_u32_e32 v3, vcc, 0, v3, vcc
	s_branch .LBB23_3
.LBB23_6:
	s_mov_b64 s[14:15], 0
                                        ; implicit-def: $vgpr2_vgpr3
                                        ; implicit-def: $vgpr4_vgpr5
	s_cbranch_execnz .LBB23_10
	s_branch .LBB23_16
.LBB23_7:
	v_add_u32_e32 v1, s12, v0
	v_cmp_gt_i32_e32 vcc, s3, v1
	s_mov_b64 s[0:1], 0
	s_mov_b64 s[14:15], 0
                                        ; implicit-def: $vgpr4_vgpr5
	s_and_saveexec_b64 s[16:17], vcc
	s_xor_b64 s[16:17], exec, s[16:17]
	s_cbranch_execz .LBB23_9
; %bb.8:
	v_ashrrev_i32_e32 v4, 31, v1
	s_ashr_i32 s7, s6, 31
	v_mul_lo_u32 v7, v4, s10
	v_mad_u64_u32 v[4:5], s[18:19], v1, s10, 0
	v_mul_lo_u32 v6, v1, s11
	s_lshl_b64 s[18:19], s[6:7], 4
	v_add3_u32 v5, v5, v6, v7
	s_add_u32 s2, s18, s8
	v_lshlrev_b64 v[4:5], 4, v[4:5]
	s_addc_u32 s7, s19, s9
	v_mov_b32_e32 v1, s7
	v_add_co_u32_e32 v4, vcc, s2, v4
	s_mov_b64 s[14:15], exec
	v_addc_co_u32_e32 v5, vcc, v1, v5, vcc
.LBB23_9:
	s_or_b64 exec, exec, s[16:17]
	s_and_b64 vcc, exec, s[0:1]
	s_cbranch_vccz .LBB23_16
.LBB23_10:
	s_ashr_i32 s0, s6, 31
	s_mul_i32 s1, s6, s11
	s_mul_hi_u32 s2, s6, s10
	s_add_i32 s1, s2, s1
	s_mul_i32 s0, s0, s10
	v_cmp_gt_i32_e32 vcc, s3, v0
	s_add_i32 s11, s1, s0
	v_cndmask_b32_e32 v1, 0, v0, vcc
	s_mul_i32 s10, s6, s10
	s_mov_b32 s2, 0
	s_cmpk_lt_i32 s3, 0x100
	v_pk_mov_b32 v[2:3], 0, 0
	v_lshlrev_b32_e32 v1, 4, v1
	s_cbranch_scc1 .LBB23_13
; %bb.11:
	s_lshl_b64 s[0:1], s[10:11], 4
	s_add_u32 s0, s8, s0
	s_addc_u32 s1, s9, s1
	v_mov_b32_e32 v2, s1
	v_add_co_u32_e32 v3, vcc, s0, v1
	v_addc_co_u32_e32 v2, vcc, 0, v2, vcc
	v_add_co_u32_e32 v4, vcc, 8, v3
	v_addc_co_u32_e32 v5, vcc, 0, v2, vcc
	v_pk_mov_b32 v[2:3], 0, 0
.LBB23_12:                              ; =>This Inner Loop Header: Depth=1
	global_load_dwordx4 v[6:9], v[4:5], off offset:-8
	v_add_co_u32_e32 v4, vcc, 0x1000, v4
	v_addc_co_u32_e32 v5, vcc, 0, v5, vcc
	s_addk_i32 s2, 0x100
	s_waitcnt vmcnt(0)
	v_cmp_neq_f64_e32 vcc, 0, v[6:7]
	v_cmp_neq_f64_e64 s[0:1], 0, v[8:9]
	s_or_b64 s[0:1], vcc, s[0:1]
	v_cndmask_b32_e64 v6, 0, 1, s[0:1]
	v_add_co_u32_e32 v2, vcc, v2, v6
	s_cmp_ge_i32 s2, s12
	v_addc_co_u32_e32 v3, vcc, 0, v3, vcc
	s_cbranch_scc0 .LBB23_12
.LBB23_13:
	v_add_u32_e32 v4, s12, v0
	v_cmp_gt_i32_e32 vcc, s3, v4
                                        ; implicit-def: $vgpr4_vgpr5
	s_and_saveexec_b64 s[0:1], vcc
; %bb.14:
	s_lshl_b64 s[10:11], s[10:11], 4
	s_add_u32 s2, s8, s10
	s_addc_u32 s7, s9, s11
	s_ashr_i32 s13, s12, 31
	s_lshl_b64 s[8:9], s[12:13], 4
	s_add_u32 s2, s8, s2
	s_addc_u32 s7, s9, s7
	v_mov_b32_e32 v5, s7
	v_add_co_u32_e32 v4, vcc, s2, v1
	v_addc_co_u32_e32 v5, vcc, 0, v5, vcc
	s_or_b64 s[14:15], s[14:15], exec
; %bb.15:
	s_or_b64 exec, exec, s[0:1]
.LBB23_16:
	s_and_saveexec_b64 s[8:9], s[14:15]
	s_cbranch_execz .LBB23_18
; %bb.17:
	global_load_dwordx4 v[4:7], v[4:5], off
	s_waitcnt vmcnt(0)
	v_cmp_neq_f64_e32 vcc, 0, v[4:5]
	v_cmp_neq_f64_e64 s[0:1], 0, v[6:7]
	s_or_b64 s[0:1], vcc, s[0:1]
	v_cndmask_b32_e64 v1, 0, 1, s[0:1]
	v_add_co_u32_e32 v2, vcc, v2, v1
	v_addc_co_u32_e32 v3, vcc, 0, v3, vcc
.LBB23_18:
	s_or_b64 exec, exec, s[8:9]
	v_lshlrev_b32_e32 v1, 3, v0
	s_cmpk_lt_i32 s3, 0x100
	s_mov_b64 s[0:1], -1
	v_cmp_eq_u32_e32 vcc, 0, v0
	ds_write_b64 v1, v[2:3]
	s_waitcnt lgkmcnt(0)
	s_cbranch_scc1 .LBB23_22
; %bb.19:
	s_and_b64 vcc, exec, s[0:1]
	s_cbranch_vccnz .LBB23_32
.LBB23_20:
	v_cmp_eq_u32_e32 vcc, 0, v0
	s_and_saveexec_b64 s[0:1], vcc
	s_cbranch_execnz .LBB23_49
.LBB23_21:
	s_endpgm
.LBB23_22:
	s_cmp_gt_i32 s3, 1
	s_cselect_b64 s[0:1], -1, 0
	s_mov_b32 s7, 1
	s_and_b64 s[8:9], vcc, s[0:1]
	s_barrier
	s_and_saveexec_b64 s[0:1], s[8:9]
	s_cbranch_execz .LBB23_31
; %bb.23:
	v_mov_b32_e32 v2, 0
	ds_read_b64 v[2:3], v2
	s_add_i32 s2, s3, -1
	s_add_i32 s3, s3, -2
	s_cmp_lt_u32 s3, 7
	s_cbranch_scc1 .LBB23_27
; %bb.24:
	s_and_b32 s3, s2, -8
	s_mov_b32 s8, 0
	s_mov_b32 s7, 8
.LBB23_25:                              ; =>This Inner Loop Header: Depth=1
	v_mov_b32_e32 v16, s7
	ds_read2_b64 v[4:7], v16 offset1:1
	ds_read2_b64 v[8:11], v16 offset0:2 offset1:3
	ds_read2_b64 v[12:15], v16 offset0:4 offset1:5
	;; [unrolled: 1-line block ×3, first 2 shown]
	s_mov_b32 s9, s8
	s_waitcnt lgkmcnt(3)
	v_add_co_u32_e32 v2, vcc, v2, v4
	v_addc_co_u32_e32 v3, vcc, v3, v5, vcc
	v_add_co_u32_e32 v2, vcc, v2, v6
	v_addc_co_u32_e32 v3, vcc, v3, v7, vcc
	s_waitcnt lgkmcnt(2)
	v_add_co_u32_e32 v2, vcc, v2, v8
	v_addc_co_u32_e32 v3, vcc, v3, v9, vcc
	v_add_co_u32_e32 v2, vcc, v2, v10
	v_addc_co_u32_e32 v3, vcc, v3, v11, vcc
	;; [unrolled: 5-line block ×3, first 2 shown]
	s_waitcnt lgkmcnt(0)
	v_add_co_u32_e32 v2, vcc, v2, v16
	v_addc_co_u32_e32 v3, vcc, v3, v17, vcc
	s_add_i32 s7, s7, 64
	s_add_i32 s8, s8, 8
	v_add_co_u32_e32 v2, vcc, v2, v18
	s_cmp_lg_u32 s3, s8
	v_addc_co_u32_e32 v3, vcc, v3, v19, vcc
	s_cbranch_scc1 .LBB23_25
; %bb.26:
	s_add_i32 s7, s9, 9
.LBB23_27:
	s_and_b32 s2, s2, 7
	s_cmp_eq_u32 s2, 0
	s_cbranch_scc1 .LBB23_30
; %bb.28:
	s_lshl_b32 s3, s7, 3
.LBB23_29:                              ; =>This Inner Loop Header: Depth=1
	v_mov_b32_e32 v4, s3
	ds_read_b64 v[4:5], v4
	s_add_i32 s3, s3, 8
	s_add_i32 s2, s2, -1
	s_cmp_lg_u32 s2, 0
	s_waitcnt lgkmcnt(0)
	v_add_co_u32_e32 v2, vcc, v2, v4
	v_addc_co_u32_e32 v3, vcc, v3, v5, vcc
	s_cbranch_scc1 .LBB23_29
.LBB23_30:
	v_mov_b32_e32 v4, 0
	s_waitcnt lgkmcnt(0)
	ds_write_b64 v4, v[2:3]
.LBB23_31:
	s_or_b64 exec, exec, s[0:1]
	s_waitcnt lgkmcnt(0)
	s_barrier
	s_branch .LBB23_20
.LBB23_32:
	s_movk_i32 s0, 0x80
	v_cmp_gt_u32_e32 vcc, s0, v0
	s_barrier
	s_and_saveexec_b64 s[0:1], vcc
	s_cbranch_execz .LBB23_34
; %bb.33:
	ds_read2st64_b64 v[2:5], v1 offset1:2
	s_waitcnt lgkmcnt(0)
	v_add_co_u32_e32 v2, vcc, v2, v4
	v_addc_co_u32_e32 v3, vcc, v3, v5, vcc
	ds_write_b64 v1, v[2:3]
.LBB23_34:
	s_or_b64 exec, exec, s[0:1]
	v_cmp_gt_u32_e32 vcc, 64, v0
	s_waitcnt lgkmcnt(0)
	s_barrier
	s_and_saveexec_b64 s[0:1], vcc
	s_cbranch_execz .LBB23_36
; %bb.35:
	ds_read2st64_b64 v[2:5], v1 offset1:1
	s_waitcnt lgkmcnt(0)
	v_add_co_u32_e32 v2, vcc, v2, v4
	v_addc_co_u32_e32 v3, vcc, v3, v5, vcc
	ds_write_b64 v1, v[2:3]
.LBB23_36:
	s_or_b64 exec, exec, s[0:1]
	v_cmp_gt_u32_e32 vcc, 32, v0
	s_waitcnt lgkmcnt(0)
	s_barrier
	s_and_saveexec_b64 s[0:1], vcc
	s_cbranch_execz .LBB23_38
; %bb.37:
	ds_read2_b64 v[2:5], v1 offset1:32
	s_waitcnt lgkmcnt(0)
	v_add_co_u32_e32 v2, vcc, v2, v4
	v_addc_co_u32_e32 v3, vcc, v3, v5, vcc
	ds_write_b64 v1, v[2:3]
.LBB23_38:
	s_or_b64 exec, exec, s[0:1]
	v_cmp_gt_u32_e32 vcc, 16, v0
	s_waitcnt lgkmcnt(0)
	s_barrier
	s_and_saveexec_b64 s[0:1], vcc
	s_cbranch_execz .LBB23_40
; %bb.39:
	ds_read2_b64 v[2:5], v1 offset1:16
	s_waitcnt lgkmcnt(0)
	v_add_co_u32_e32 v2, vcc, v2, v4
	v_addc_co_u32_e32 v3, vcc, v3, v5, vcc
	ds_write_b64 v1, v[2:3]
.LBB23_40:
	;; [unrolled: 13-line block ×5, first 2 shown]
	s_or_b64 exec, exec, s[0:1]
	v_cmp_eq_u32_e32 vcc, 0, v0
	s_waitcnt lgkmcnt(0)
	s_barrier
	s_and_saveexec_b64 s[0:1], vcc
	s_cbranch_execz .LBB23_48
; %bb.47:
	v_mov_b32_e32 v1, 0
	ds_read_b128 v[2:5], v1
	s_waitcnt lgkmcnt(0)
	v_add_co_u32_e32 v2, vcc, v2, v4
	v_addc_co_u32_e32 v3, vcc, v3, v5, vcc
	ds_write_b64 v1, v[2:3]
.LBB23_48:
	s_or_b64 exec, exec, s[0:1]
	s_waitcnt lgkmcnt(0)
	s_barrier
	v_cmp_eq_u32_e32 vcc, 0, v0
	s_and_saveexec_b64 s[0:1], vcc
	s_cbranch_execz .LBB23_21
.LBB23_49:
	s_load_dwordx2 s[0:1], s[4:5], 0x20
	v_mov_b32_e32 v2, 0
	ds_read_b64 v[0:1], v2
	s_ashr_i32 s7, s6, 31
	s_lshl_b64 s[2:3], s[6:7], 3
	s_waitcnt lgkmcnt(0)
	s_add_u32 s0, s0, s2
	s_addc_u32 s1, s1, s3
	global_store_dwordx2 v2, v[0:1], s[0:1]
	s_endpgm
	.section	.rodata,"a",@progbits
	.p2align	6, 0x0
	.amdhsa_kernel _ZN9rocsparseL14nnz_kernel_colILi256Eli21rocsparse_complex_numIdEEEv16rocsparse_order_T1_S4_PKT2_lPT0_
		.amdhsa_group_segment_fixed_size 2048
		.amdhsa_private_segment_fixed_size 0
		.amdhsa_kernarg_size 40
		.amdhsa_user_sgpr_count 6
		.amdhsa_user_sgpr_private_segment_buffer 1
		.amdhsa_user_sgpr_dispatch_ptr 0
		.amdhsa_user_sgpr_queue_ptr 0
		.amdhsa_user_sgpr_kernarg_segment_ptr 1
		.amdhsa_user_sgpr_dispatch_id 0
		.amdhsa_user_sgpr_flat_scratch_init 0
		.amdhsa_user_sgpr_kernarg_preload_length 0
		.amdhsa_user_sgpr_kernarg_preload_offset 0
		.amdhsa_user_sgpr_private_segment_size 0
		.amdhsa_uses_dynamic_stack 0
		.amdhsa_system_sgpr_private_segment_wavefront_offset 0
		.amdhsa_system_sgpr_workgroup_id_x 1
		.amdhsa_system_sgpr_workgroup_id_y 0
		.amdhsa_system_sgpr_workgroup_id_z 0
		.amdhsa_system_sgpr_workgroup_info 0
		.amdhsa_system_vgpr_workitem_id 0
		.amdhsa_next_free_vgpr 20
		.amdhsa_next_free_sgpr 20
		.amdhsa_accum_offset 20
		.amdhsa_reserve_vcc 1
		.amdhsa_reserve_flat_scratch 0
		.amdhsa_float_round_mode_32 0
		.amdhsa_float_round_mode_16_64 0
		.amdhsa_float_denorm_mode_32 3
		.amdhsa_float_denorm_mode_16_64 3
		.amdhsa_dx10_clamp 1
		.amdhsa_ieee_mode 1
		.amdhsa_fp16_overflow 0
		.amdhsa_tg_split 0
		.amdhsa_exception_fp_ieee_invalid_op 0
		.amdhsa_exception_fp_denorm_src 0
		.amdhsa_exception_fp_ieee_div_zero 0
		.amdhsa_exception_fp_ieee_overflow 0
		.amdhsa_exception_fp_ieee_underflow 0
		.amdhsa_exception_fp_ieee_inexact 0
		.amdhsa_exception_int_div_zero 0
	.end_amdhsa_kernel
	.section	.text._ZN9rocsparseL14nnz_kernel_colILi256Eli21rocsparse_complex_numIdEEEv16rocsparse_order_T1_S4_PKT2_lPT0_,"axG",@progbits,_ZN9rocsparseL14nnz_kernel_colILi256Eli21rocsparse_complex_numIdEEEv16rocsparse_order_T1_S4_PKT2_lPT0_,comdat
.Lfunc_end23:
	.size	_ZN9rocsparseL14nnz_kernel_colILi256Eli21rocsparse_complex_numIdEEEv16rocsparse_order_T1_S4_PKT2_lPT0_, .Lfunc_end23-_ZN9rocsparseL14nnz_kernel_colILi256Eli21rocsparse_complex_numIdEEEv16rocsparse_order_T1_S4_PKT2_lPT0_
                                        ; -- End function
	.section	.AMDGPU.csdata,"",@progbits
; Kernel info:
; codeLenInByte = 1500
; NumSgprs: 24
; NumVgprs: 20
; NumAgprs: 0
; TotalNumVgprs: 20
; ScratchSize: 0
; MemoryBound: 0
; FloatMode: 240
; IeeeMode: 1
; LDSByteSize: 2048 bytes/workgroup (compile time only)
; SGPRBlocks: 2
; VGPRBlocks: 2
; NumSGPRsForWavesPerEU: 24
; NumVGPRsForWavesPerEU: 20
; AccumOffset: 20
; Occupancy: 8
; WaveLimiterHint : 0
; COMPUTE_PGM_RSRC2:SCRATCH_EN: 0
; COMPUTE_PGM_RSRC2:USER_SGPR: 6
; COMPUTE_PGM_RSRC2:TRAP_HANDLER: 0
; COMPUTE_PGM_RSRC2:TGID_X_EN: 1
; COMPUTE_PGM_RSRC2:TGID_Y_EN: 0
; COMPUTE_PGM_RSRC2:TGID_Z_EN: 0
; COMPUTE_PGM_RSRC2:TIDIG_COMP_CNT: 0
; COMPUTE_PGM_RSRC3_GFX90A:ACCUM_OFFSET: 4
; COMPUTE_PGM_RSRC3_GFX90A:TG_SPLIT: 0
	.section	.text._ZN9rocsparseL14nnz_kernel_rowILi64ELi16Ell18rocsparse_bfloat16EEv16rocsparse_order_T2_S3_PKT3_lPT1_,"axG",@progbits,_ZN9rocsparseL14nnz_kernel_rowILi64ELi16Ell18rocsparse_bfloat16EEv16rocsparse_order_T2_S3_PKT3_lPT1_,comdat
	.globl	_ZN9rocsparseL14nnz_kernel_rowILi64ELi16Ell18rocsparse_bfloat16EEv16rocsparse_order_T2_S3_PKT3_lPT1_ ; -- Begin function _ZN9rocsparseL14nnz_kernel_rowILi64ELi16Ell18rocsparse_bfloat16EEv16rocsparse_order_T2_S3_PKT3_lPT1_
	.p2align	8
	.type	_ZN9rocsparseL14nnz_kernel_rowILi64ELi16Ell18rocsparse_bfloat16EEv16rocsparse_order_T2_S3_PKT3_lPT1_,@function
_ZN9rocsparseL14nnz_kernel_rowILi64ELi16Ell18rocsparse_bfloat16EEv16rocsparse_order_T2_S3_PKT3_lPT1_: ; @_ZN9rocsparseL14nnz_kernel_rowILi64ELi16Ell18rocsparse_bfloat16EEv16rocsparse_order_T2_S3_PKT3_lPT1_
; %bb.0:
	s_load_dword s0, s[4:5], 0x3c
	s_load_dwordx2 s[10:11], s[4:5], 0x28
	s_load_dword s42, s[4:5], 0x0
	s_load_dwordx8 s[12:19], s[4:5], 0x8
	v_and_b32_e32 v1, 0x3ff, v0
	s_waitcnt lgkmcnt(0)
	s_and_b32 s0, s0, 0xffff
	v_bfe_u32 v0, v0, 10, 10
	v_mad_u32_u24 v37, v0, s0, v1
	s_ashr_i32 s0, s15, 31
	s_lshl_b32 s33, s6, 8
	s_lshr_b32 s0, s0, 26
	s_mov_b32 s20, 0
	s_add_u32 s0, s14, s0
	v_mov_b32_e32 v19, 0
	v_and_b32_e32 v38, 63, v37
	s_addc_u32 s31, s15, 0
	s_and_b32 s30, s0, 0xffffffc0
	v_lshrrev_b32_e32 v0, 4, v37
	s_mov_b32 s21, s20
	v_or_b32_e32 v18, s33, v38
	s_sub_u32 s28, s14, s30
	v_and_b32_e32 v16, 0x7ffffc, v0
	v_mov_b32_e32 v17, v19
	s_mov_b32 s22, s20
	s_mov_b32 s23, s20
	;; [unrolled: 1-line block ×6, first 2 shown]
	v_pk_mov_b32 v[0:1], s[20:21], s[20:21] op_sel:[0,1]
	s_subb_u32 s29, s15, s31
	v_cmp_gt_i64_e32 vcc, s[30:31], v[16:17]
	v_pk_mov_b32 v[2:3], s[22:23], s[22:23] op_sel:[0,1]
	v_pk_mov_b32 v[4:5], s[24:25], s[24:25] op_sel:[0,1]
	;; [unrolled: 1-line block ×3, first 2 shown]
	v_or_b32_e32 v20, 64, v18
	s_and_saveexec_b64 s[34:35], vcc
	s_cbranch_execz .LBB24_28
; %bb.1:
	v_or_b32_e32 v0, 0x80, v18
	v_mov_b32_e32 v1, v19
	v_cmp_gt_i64_e64 s[4:5], s[12:13], v[0:1]
	v_or_b32_e32 v0, 0xc0, v18
	v_cmp_gt_i64_e64 s[6:7], s[12:13], v[0:1]
	v_add_co_u32_e32 v0, vcc, s33, v38
	v_addc_co_u32_e64 v1, s[8:9], 0, 0, vcc
	v_mul_lo_u32 v4, s19, v0
	v_mul_lo_u32 v5, s18, v1
	v_mad_u64_u32 v[2:3], s[8:9], s18, v0, 0
	v_add3_u32 v3, v3, v5, v4
	v_lshrrev_b32_e32 v5, 6, v37
	v_lshlrev_b64 v[2:3], 1, v[2:3]
	v_lshlrev_b32_e32 v4, 3, v5
	v_mov_b32_e32 v21, v19
	v_add_co_u32_e32 v22, vcc, v2, v4
	v_cmp_gt_i64_e64 s[2:3], s[12:13], v[20:21]
	v_addc_co_u32_e32 v21, vcc, 0, v3, vcc
	v_add_co_u32_e32 v2, vcc, 64, v0
	v_addc_co_u32_e32 v3, vcc, 0, v1, vcc
	v_mul_lo_u32 v6, s19, v2
	v_mul_lo_u32 v7, s18, v3
	v_mad_u64_u32 v[2:3], s[8:9], s18, v2, 0
	v_add3_u32 v3, v3, v7, v6
	v_lshlrev_b64 v[2:3], 1, v[2:3]
	v_add_co_u32_e32 v24, vcc, v2, v4
	s_movk_i32 s38, 0x80
	v_addc_co_u32_e32 v23, vcc, 0, v3, vcc
	v_add_co_u32_e32 v2, vcc, s38, v0
	v_addc_co_u32_e32 v3, vcc, 0, v1, vcc
	v_mul_lo_u32 v6, s19, v2
	v_mul_lo_u32 v7, s18, v3
	v_mad_u64_u32 v[2:3], s[8:9], s18, v2, 0
	v_add3_u32 v3, v3, v7, v6
	v_lshlrev_b64 v[2:3], 1, v[2:3]
	v_add_co_u32_e32 v26, vcc, v2, v4
	s_movk_i32 s39, 0xc0
	v_addc_co_u32_e32 v25, vcc, 0, v3, vcc
	v_add_co_u32_e32 v2, vcc, s39, v0
	v_addc_co_u32_e32 v3, vcc, 0, v1, vcc
	v_mul_lo_u32 v6, s19, v2
	v_mul_lo_u32 v7, s18, v3
	v_mad_u64_u32 v[2:3], s[8:9], s18, v2, 0
	v_add3_u32 v3, v3, v7, v6
	v_lshlrev_b64 v[2:3], 1, v[2:3]
	v_add_co_u32_e32 v28, vcc, v2, v4
	v_addc_co_u32_e32 v27, vcc, 0, v3, vcc
	v_or_b32_e32 v3, 6, v4
	v_lshlrev_b64 v[0:1], 1, v[0:1]
	v_mad_u64_u32 v[30:31], s[8:9], s18, v3, v[0:1]
	v_mov_b32_e32 v2, v31
	v_mad_u64_u32 v[2:3], s[8:9], s19, v3, v[2:3]
	v_or_b32_e32 v3, 4, v4
	v_mad_u64_u32 v[32:33], s[8:9], s18, v3, v[0:1]
	v_mov_b32_e32 v29, v2
	v_mov_b32_e32 v2, v33
	v_mad_u64_u32 v[2:3], s[8:9], s19, v3, v[2:3]
	v_or_b32_e32 v3, 2, v4
	v_mad_u64_u32 v[34:35], s[8:9], s18, v3, v[0:1]
	v_mov_b32_e32 v31, v2
	v_mov_b32_e32 v2, v35
	v_mad_u64_u32 v[2:3], s[8:9], s19, v3, v[2:3]
	v_mov_b32_e32 v33, v2
	v_mad_u64_u32 v[2:3], s[8:9], s18, v5, 0
	;; [unrolled: 2-line block ×3, first 2 shown]
	v_mov_b32_e32 v3, v4
	v_lshlrev_b64 v[2:3], 3, v[2:3]
	v_add_co_u32_e32 v36, vcc, v2, v0
	s_cmp_lg_u32 s42, 1
	v_addc_co_u32_e32 v35, vcc, v3, v1, vcc
	v_pk_mov_b32 v[0:1], s[20:21], s[20:21] op_sel:[0,1]
	s_cselect_b64 s[36:37], -1, 0
	v_cmp_gt_i64_e64 s[0:1], s[12:13], v[18:19]
	s_lshl_b64 s[38:39], s[18:19], 7
	s_mov_b64 s[40:41], 0
	v_pk_mov_b32 v[2:3], s[22:23], s[22:23] op_sel:[0,1]
	v_pk_mov_b32 v[4:5], s[24:25], s[24:25] op_sel:[0,1]
	;; [unrolled: 1-line block ×3, first 2 shown]
	s_movk_i32 s24, 0x7fff
	s_branch .LBB24_4
.LBB24_2:                               ;   in Loop: Header=BB24_4 Depth=1
	v_pk_mov_b32 v[0:1], v[8:9], v[8:9] op_sel:[0,1]
	v_pk_mov_b32 v[2:3], v[10:11], v[10:11] op_sel:[0,1]
	;; [unrolled: 1-line block ×4, first 2 shown]
.LBB24_3:                               ;   in Loop: Header=BB24_4 Depth=1
	s_or_b64 exec, exec, s[20:21]
	v_add_co_u32_e32 v16, vcc, 64, v16
	v_addc_co_u32_e32 v17, vcc, 0, v17, vcc
	v_add_co_u32_e32 v22, vcc, 0x80, v22
	v_addc_co_u32_e32 v21, vcc, 0, v21, vcc
	;; [unrolled: 2-line block ×5, first 2 shown]
	v_mov_b32_e32 v8, s39
	v_add_co_u32_e32 v30, vcc, s38, v30
	v_addc_co_u32_e32 v29, vcc, v29, v8, vcc
	v_add_co_u32_e32 v32, vcc, s38, v32
	v_addc_co_u32_e32 v31, vcc, v31, v8, vcc
	;; [unrolled: 2-line block ×3, first 2 shown]
	v_cmp_le_i64_e32 vcc, s[30:31], v[16:17]
	s_or_b64 s[40:41], vcc, s[40:41]
	v_add_co_u32_e32 v36, vcc, s38, v36
	v_addc_co_u32_e32 v35, vcc, v35, v8, vcc
	s_andn2_b64 exec, exec, s[40:41]
	s_cbranch_execz .LBB24_27
.LBB24_4:                               ; =>This Inner Loop Header: Depth=1
	v_cndmask_b32_e64 v8, 0, 1, s[36:37]
	v_cmp_ne_u32_e64 s[8:9], 1, v8
	s_and_saveexec_b64 s[20:21], s[0:1]
	s_cbranch_execnz .LBB24_8
; %bb.5:                                ;   in Loop: Header=BB24_4 Depth=1
	s_or_b64 exec, exec, s[20:21]
	s_and_saveexec_b64 s[20:21], s[2:3]
	s_cbranch_execnz .LBB24_13
.LBB24_6:                               ;   in Loop: Header=BB24_4 Depth=1
	s_or_b64 exec, exec, s[20:21]
	s_and_saveexec_b64 s[20:21], s[4:5]
	s_cbranch_execnz .LBB24_18
.LBB24_7:                               ;   in Loop: Header=BB24_4 Depth=1
	s_or_b64 exec, exec, s[20:21]
	s_and_saveexec_b64 s[20:21], s[6:7]
	s_cbranch_execz .LBB24_3
	s_branch .LBB24_23
.LBB24_8:                               ;   in Loop: Header=BB24_4 Depth=1
	s_and_b64 vcc, exec, s[8:9]
	s_cbranch_vccnz .LBB24_10
; %bb.9:                                ;   in Loop: Header=BB24_4 Depth=1
	v_mov_b32_e32 v9, s17
	v_add_co_u32_e32 v8, vcc, s16, v22
	v_addc_co_u32_e32 v9, vcc, v9, v21, vcc
	global_load_dwordx2 v[8:9], v[8:9], off
	v_add_co_u32_e32 v39, vcc, 1, v0
	v_addc_co_u32_e32 v40, vcc, 0, v1, vcc
	v_mov_b32_e32 v10, v2
	v_mov_b32_e32 v11, v3
	;; [unrolled: 1-line block ×6, first 2 shown]
	s_waitcnt vmcnt(0)
	v_and_b32_e32 v41, 0x7fff, v8
	v_cmp_eq_u16_e32 vcc, 0, v41
	v_cndmask_b32_e32 v39, v39, v0, vcc
	v_cndmask_b32_e32 v40, v40, v1, vcc
	v_add_co_u32_e32 v41, vcc, 1, v39
	v_and_b32_sdwa v8, v8, s24 dst_sel:DWORD dst_unused:UNUSED_PAD src0_sel:WORD_1 src1_sel:DWORD
	v_addc_co_u32_e32 v43, vcc, 0, v40, vcc
	v_cmp_eq_u16_e32 vcc, 0, v8
	v_cndmask_b32_e32 v39, v41, v39, vcc
	v_cndmask_b32_e32 v8, v43, v40, vcc
	v_add_co_u32_e32 v40, vcc, 1, v39
	v_and_b32_e32 v42, 0x7fff, v9
	v_addc_co_u32_e32 v41, vcc, 0, v8, vcc
	v_cmp_eq_u16_e32 vcc, 0, v42
	v_cndmask_b32_e32 v39, v40, v39, vcc
	v_cndmask_b32_e32 v8, v41, v8, vcc
	v_add_co_u32_e32 v40, vcc, 1, v39
	v_and_b32_sdwa v9, v9, s24 dst_sel:DWORD dst_unused:UNUSED_PAD src0_sel:WORD_1 src1_sel:DWORD
	v_addc_co_u32_e32 v41, vcc, 0, v8, vcc
	v_cmp_eq_u16_e32 vcc, 0, v9
	v_cndmask_b32_e32 v9, v41, v8, vcc
	v_cndmask_b32_e32 v8, v40, v39, vcc
	s_cbranch_execz .LBB24_11
	s_branch .LBB24_12
.LBB24_10:                              ;   in Loop: Header=BB24_4 Depth=1
                                        ; implicit-def: $vgpr8_vgpr9_vgpr10_vgpr11_vgpr12_vgpr13_vgpr14_vgpr15
.LBB24_11:                              ;   in Loop: Header=BB24_4 Depth=1
	v_mov_b32_e32 v15, s17
	v_add_co_u32_e32 v8, vcc, s16, v36
	v_addc_co_u32_e32 v9, vcc, v15, v35, vcc
	v_add_co_u32_e32 v10, vcc, s16, v34
	v_addc_co_u32_e32 v11, vcc, v15, v33, vcc
	v_add_co_u32_e32 v12, vcc, s16, v32
	v_addc_co_u32_e32 v13, vcc, v15, v31, vcc
	v_add_co_u32_e32 v14, vcc, s16, v30
	v_addc_co_u32_e32 v15, vcc, v15, v29, vcc
	global_load_ushort v39, v[8:9], off
	global_load_ushort v40, v[10:11], off
	;; [unrolled: 1-line block ×4, first 2 shown]
	v_add_co_u32_e32 v8, vcc, 1, v0
	v_addc_co_u32_e32 v9, vcc, 0, v1, vcc
	s_waitcnt vmcnt(3)
	v_and_b32_e32 v10, 0x7fff, v39
	v_cmp_eq_u16_e32 vcc, 0, v10
	v_cndmask_b32_e32 v0, v8, v0, vcc
	v_cndmask_b32_e32 v1, v9, v1, vcc
	v_add_co_u32_e32 v8, vcc, 1, v0
	s_waitcnt vmcnt(2)
	v_and_b32_e32 v11, 0x7fff, v40
	v_addc_co_u32_e32 v9, vcc, 0, v1, vcc
	v_cmp_eq_u16_e32 vcc, 0, v11
	v_cndmask_b32_e32 v0, v8, v0, vcc
	v_cndmask_b32_e32 v1, v9, v1, vcc
	v_add_co_u32_e32 v8, vcc, 1, v0
	s_waitcnt vmcnt(1)
	v_and_b32_e32 v12, 0x7fff, v41
	v_addc_co_u32_e32 v9, vcc, 0, v1, vcc
	;; [unrolled: 7-line block ×3, first 2 shown]
	v_cmp_eq_u16_e32 vcc, 0, v13
	v_cndmask_b32_e32 v1, v9, v1, vcc
	v_cndmask_b32_e32 v0, v8, v0, vcc
	v_pk_mov_b32 v[14:15], v[6:7], v[6:7] op_sel:[0,1]
	v_pk_mov_b32 v[12:13], v[4:5], v[4:5] op_sel:[0,1]
	;; [unrolled: 1-line block ×4, first 2 shown]
.LBB24_12:                              ;   in Loop: Header=BB24_4 Depth=1
	v_pk_mov_b32 v[0:1], v[8:9], v[8:9] op_sel:[0,1]
	v_pk_mov_b32 v[2:3], v[10:11], v[10:11] op_sel:[0,1]
	;; [unrolled: 1-line block ×4, first 2 shown]
	s_or_b64 exec, exec, s[20:21]
	s_and_saveexec_b64 s[20:21], s[2:3]
	s_cbranch_execz .LBB24_6
.LBB24_13:                              ;   in Loop: Header=BB24_4 Depth=1
	s_and_b64 vcc, exec, s[8:9]
	s_cbranch_vccnz .LBB24_15
; %bb.14:                               ;   in Loop: Header=BB24_4 Depth=1
	v_mov_b32_e32 v9, s17
	v_add_co_u32_e32 v8, vcc, s16, v24
	v_addc_co_u32_e32 v9, vcc, v9, v23, vcc
	global_load_dwordx2 v[10:11], v[8:9], off
	v_add_co_u32_e32 v39, vcc, 1, v2
	v_addc_co_u32_e32 v40, vcc, 0, v3, vcc
	v_mov_b32_e32 v8, v0
	v_mov_b32_e32 v9, v1
	;; [unrolled: 1-line block ×6, first 2 shown]
	s_waitcnt vmcnt(0)
	v_and_b32_e32 v41, 0x7fff, v10
	v_cmp_eq_u16_e32 vcc, 0, v41
	v_cndmask_b32_e32 v39, v39, v2, vcc
	v_cndmask_b32_e32 v40, v40, v3, vcc
	v_add_co_u32_e32 v41, vcc, 1, v39
	v_and_b32_sdwa v10, v10, s24 dst_sel:DWORD dst_unused:UNUSED_PAD src0_sel:WORD_1 src1_sel:DWORD
	v_addc_co_u32_e32 v43, vcc, 0, v40, vcc
	v_cmp_eq_u16_e32 vcc, 0, v10
	v_cndmask_b32_e32 v39, v41, v39, vcc
	v_cndmask_b32_e32 v10, v43, v40, vcc
	v_add_co_u32_e32 v40, vcc, 1, v39
	v_and_b32_e32 v42, 0x7fff, v11
	v_addc_co_u32_e32 v41, vcc, 0, v10, vcc
	v_cmp_eq_u16_e32 vcc, 0, v42
	v_cndmask_b32_e32 v39, v40, v39, vcc
	v_cndmask_b32_e32 v10, v41, v10, vcc
	v_add_co_u32_e32 v40, vcc, 1, v39
	v_and_b32_sdwa v11, v11, s24 dst_sel:DWORD dst_unused:UNUSED_PAD src0_sel:WORD_1 src1_sel:DWORD
	v_addc_co_u32_e32 v41, vcc, 0, v10, vcc
	v_cmp_eq_u16_e32 vcc, 0, v11
	v_cndmask_b32_e32 v11, v41, v10, vcc
	v_cndmask_b32_e32 v10, v40, v39, vcc
	s_cbranch_execz .LBB24_16
	s_branch .LBB24_17
.LBB24_15:                              ;   in Loop: Header=BB24_4 Depth=1
                                        ; implicit-def: $vgpr8_vgpr9_vgpr10_vgpr11_vgpr12_vgpr13_vgpr14_vgpr15
.LBB24_16:                              ;   in Loop: Header=BB24_4 Depth=1
	v_mov_b32_e32 v15, s17
	v_add_co_u32_e32 v8, vcc, s16, v36
	v_addc_co_u32_e32 v9, vcc, v15, v35, vcc
	v_add_co_u32_e32 v10, vcc, s16, v34
	v_addc_co_u32_e32 v11, vcc, v15, v33, vcc
	;; [unrolled: 2-line block ×4, first 2 shown]
	global_load_ushort v39, v[8:9], off offset:128
	global_load_ushort v40, v[10:11], off offset:128
	;; [unrolled: 1-line block ×4, first 2 shown]
	v_add_co_u32_e32 v8, vcc, 1, v2
	v_addc_co_u32_e32 v9, vcc, 0, v3, vcc
	s_waitcnt vmcnt(3)
	v_and_b32_e32 v10, 0x7fff, v39
	v_cmp_eq_u16_e32 vcc, 0, v10
	v_cndmask_b32_e32 v2, v8, v2, vcc
	v_cndmask_b32_e32 v3, v9, v3, vcc
	v_add_co_u32_e32 v8, vcc, 1, v2
	s_waitcnt vmcnt(2)
	v_and_b32_e32 v11, 0x7fff, v40
	v_addc_co_u32_e32 v9, vcc, 0, v3, vcc
	v_cmp_eq_u16_e32 vcc, 0, v11
	v_cndmask_b32_e32 v2, v8, v2, vcc
	v_cndmask_b32_e32 v3, v9, v3, vcc
	v_add_co_u32_e32 v8, vcc, 1, v2
	s_waitcnt vmcnt(1)
	v_and_b32_e32 v12, 0x7fff, v41
	v_addc_co_u32_e32 v9, vcc, 0, v3, vcc
	;; [unrolled: 7-line block ×3, first 2 shown]
	v_cmp_eq_u16_e32 vcc, 0, v13
	v_cndmask_b32_e32 v3, v9, v3, vcc
	v_cndmask_b32_e32 v2, v8, v2, vcc
	v_pk_mov_b32 v[14:15], v[6:7], v[6:7] op_sel:[0,1]
	v_pk_mov_b32 v[12:13], v[4:5], v[4:5] op_sel:[0,1]
	;; [unrolled: 1-line block ×4, first 2 shown]
.LBB24_17:                              ;   in Loop: Header=BB24_4 Depth=1
	v_pk_mov_b32 v[0:1], v[8:9], v[8:9] op_sel:[0,1]
	v_pk_mov_b32 v[2:3], v[10:11], v[10:11] op_sel:[0,1]
	;; [unrolled: 1-line block ×4, first 2 shown]
	s_or_b64 exec, exec, s[20:21]
	s_and_saveexec_b64 s[20:21], s[4:5]
	s_cbranch_execz .LBB24_7
.LBB24_18:                              ;   in Loop: Header=BB24_4 Depth=1
	s_and_b64 vcc, exec, s[8:9]
	s_cbranch_vccnz .LBB24_20
; %bb.19:                               ;   in Loop: Header=BB24_4 Depth=1
	v_mov_b32_e32 v9, s17
	v_add_co_u32_e32 v8, vcc, s16, v26
	v_addc_co_u32_e32 v9, vcc, v9, v25, vcc
	global_load_dwordx2 v[12:13], v[8:9], off
	v_add_co_u32_e32 v39, vcc, 1, v4
	v_addc_co_u32_e32 v40, vcc, 0, v5, vcc
	v_mov_b32_e32 v8, v0
	v_mov_b32_e32 v9, v1
	;; [unrolled: 1-line block ×6, first 2 shown]
	s_waitcnt vmcnt(0)
	v_and_b32_e32 v41, 0x7fff, v12
	v_cmp_eq_u16_e32 vcc, 0, v41
	v_cndmask_b32_e32 v39, v39, v4, vcc
	v_cndmask_b32_e32 v40, v40, v5, vcc
	v_add_co_u32_e32 v41, vcc, 1, v39
	v_and_b32_sdwa v12, v12, s24 dst_sel:DWORD dst_unused:UNUSED_PAD src0_sel:WORD_1 src1_sel:DWORD
	v_addc_co_u32_e32 v43, vcc, 0, v40, vcc
	v_cmp_eq_u16_e32 vcc, 0, v12
	v_cndmask_b32_e32 v39, v41, v39, vcc
	v_cndmask_b32_e32 v12, v43, v40, vcc
	v_add_co_u32_e32 v40, vcc, 1, v39
	v_and_b32_e32 v42, 0x7fff, v13
	v_addc_co_u32_e32 v41, vcc, 0, v12, vcc
	v_cmp_eq_u16_e32 vcc, 0, v42
	v_cndmask_b32_e32 v39, v40, v39, vcc
	v_cndmask_b32_e32 v12, v41, v12, vcc
	v_add_co_u32_e32 v40, vcc, 1, v39
	v_and_b32_sdwa v13, v13, s24 dst_sel:DWORD dst_unused:UNUSED_PAD src0_sel:WORD_1 src1_sel:DWORD
	v_addc_co_u32_e32 v41, vcc, 0, v12, vcc
	v_cmp_eq_u16_e32 vcc, 0, v13
	v_cndmask_b32_e32 v13, v41, v12, vcc
	v_cndmask_b32_e32 v12, v40, v39, vcc
	s_cbranch_execz .LBB24_21
	s_branch .LBB24_22
.LBB24_20:                              ;   in Loop: Header=BB24_4 Depth=1
                                        ; implicit-def: $vgpr8_vgpr9_vgpr10_vgpr11_vgpr12_vgpr13_vgpr14_vgpr15
.LBB24_21:                              ;   in Loop: Header=BB24_4 Depth=1
	v_mov_b32_e32 v15, s17
	v_add_co_u32_e32 v8, vcc, s16, v36
	v_addc_co_u32_e32 v9, vcc, v15, v35, vcc
	v_add_co_u32_e32 v10, vcc, s16, v34
	v_addc_co_u32_e32 v11, vcc, v15, v33, vcc
	;; [unrolled: 2-line block ×4, first 2 shown]
	global_load_ushort v39, v[8:9], off offset:256
	global_load_ushort v40, v[10:11], off offset:256
	;; [unrolled: 1-line block ×4, first 2 shown]
	v_add_co_u32_e32 v8, vcc, 1, v4
	v_addc_co_u32_e32 v9, vcc, 0, v5, vcc
	s_waitcnt vmcnt(3)
	v_and_b32_e32 v10, 0x7fff, v39
	v_cmp_eq_u16_e32 vcc, 0, v10
	v_cndmask_b32_e32 v4, v8, v4, vcc
	v_cndmask_b32_e32 v5, v9, v5, vcc
	v_add_co_u32_e32 v8, vcc, 1, v4
	s_waitcnt vmcnt(2)
	v_and_b32_e32 v11, 0x7fff, v40
	v_addc_co_u32_e32 v9, vcc, 0, v5, vcc
	v_cmp_eq_u16_e32 vcc, 0, v11
	v_cndmask_b32_e32 v4, v8, v4, vcc
	v_cndmask_b32_e32 v5, v9, v5, vcc
	v_add_co_u32_e32 v8, vcc, 1, v4
	s_waitcnt vmcnt(1)
	v_and_b32_e32 v12, 0x7fff, v41
	v_addc_co_u32_e32 v9, vcc, 0, v5, vcc
	;; [unrolled: 7-line block ×3, first 2 shown]
	v_cmp_eq_u16_e32 vcc, 0, v13
	v_cndmask_b32_e32 v5, v9, v5, vcc
	v_cndmask_b32_e32 v4, v8, v4, vcc
	v_pk_mov_b32 v[14:15], v[6:7], v[6:7] op_sel:[0,1]
	v_pk_mov_b32 v[12:13], v[4:5], v[4:5] op_sel:[0,1]
	;; [unrolled: 1-line block ×4, first 2 shown]
.LBB24_22:                              ;   in Loop: Header=BB24_4 Depth=1
	v_pk_mov_b32 v[0:1], v[8:9], v[8:9] op_sel:[0,1]
	v_pk_mov_b32 v[2:3], v[10:11], v[10:11] op_sel:[0,1]
	;; [unrolled: 1-line block ×4, first 2 shown]
	s_or_b64 exec, exec, s[20:21]
	s_and_saveexec_b64 s[20:21], s[6:7]
	s_cbranch_execz .LBB24_3
.LBB24_23:                              ;   in Loop: Header=BB24_4 Depth=1
	s_and_b64 vcc, exec, s[8:9]
	s_cbranch_vccnz .LBB24_25
; %bb.24:                               ;   in Loop: Header=BB24_4 Depth=1
	v_mov_b32_e32 v9, s17
	v_add_co_u32_e32 v8, vcc, s16, v28
	v_addc_co_u32_e32 v9, vcc, v9, v27, vcc
	global_load_dwordx2 v[14:15], v[8:9], off
	v_add_co_u32_e32 v39, vcc, 1, v6
	v_addc_co_u32_e32 v40, vcc, 0, v7, vcc
	v_mov_b32_e32 v8, v0
	v_mov_b32_e32 v9, v1
	;; [unrolled: 1-line block ×6, first 2 shown]
	s_waitcnt vmcnt(0)
	v_and_b32_e32 v41, 0x7fff, v14
	v_cmp_eq_u16_e32 vcc, 0, v41
	v_cndmask_b32_e32 v39, v39, v6, vcc
	v_cndmask_b32_e32 v40, v40, v7, vcc
	v_add_co_u32_e32 v41, vcc, 1, v39
	v_and_b32_sdwa v14, v14, s24 dst_sel:DWORD dst_unused:UNUSED_PAD src0_sel:WORD_1 src1_sel:DWORD
	v_addc_co_u32_e32 v43, vcc, 0, v40, vcc
	v_cmp_eq_u16_e32 vcc, 0, v14
	v_cndmask_b32_e32 v39, v41, v39, vcc
	v_cndmask_b32_e32 v14, v43, v40, vcc
	v_add_co_u32_e32 v40, vcc, 1, v39
	v_and_b32_e32 v42, 0x7fff, v15
	v_addc_co_u32_e32 v41, vcc, 0, v14, vcc
	v_cmp_eq_u16_e32 vcc, 0, v42
	v_cndmask_b32_e32 v39, v40, v39, vcc
	v_cndmask_b32_e32 v14, v41, v14, vcc
	v_add_co_u32_e32 v40, vcc, 1, v39
	v_and_b32_sdwa v15, v15, s24 dst_sel:DWORD dst_unused:UNUSED_PAD src0_sel:WORD_1 src1_sel:DWORD
	v_addc_co_u32_e32 v41, vcc, 0, v14, vcc
	v_cmp_eq_u16_e32 vcc, 0, v15
	v_cndmask_b32_e32 v15, v41, v14, vcc
	v_cndmask_b32_e32 v14, v40, v39, vcc
	s_cbranch_execnz .LBB24_2
	s_branch .LBB24_26
.LBB24_25:                              ;   in Loop: Header=BB24_4 Depth=1
                                        ; implicit-def: $vgpr8_vgpr9_vgpr10_vgpr11_vgpr12_vgpr13_vgpr14_vgpr15
.LBB24_26:                              ;   in Loop: Header=BB24_4 Depth=1
	v_mov_b32_e32 v15, s17
	v_add_co_u32_e32 v8, vcc, s16, v36
	v_addc_co_u32_e32 v9, vcc, v15, v35, vcc
	v_add_co_u32_e32 v10, vcc, s16, v34
	v_addc_co_u32_e32 v11, vcc, v15, v33, vcc
	;; [unrolled: 2-line block ×4, first 2 shown]
	global_load_ushort v39, v[8:9], off offset:384
	global_load_ushort v40, v[10:11], off offset:384
	;; [unrolled: 1-line block ×4, first 2 shown]
	v_add_co_u32_e32 v8, vcc, 1, v6
	v_addc_co_u32_e32 v9, vcc, 0, v7, vcc
	s_waitcnt vmcnt(3)
	v_and_b32_e32 v10, 0x7fff, v39
	v_cmp_eq_u16_e32 vcc, 0, v10
	v_cndmask_b32_e32 v6, v8, v6, vcc
	v_cndmask_b32_e32 v7, v9, v7, vcc
	v_add_co_u32_e32 v8, vcc, 1, v6
	s_waitcnt vmcnt(2)
	v_and_b32_e32 v11, 0x7fff, v40
	v_addc_co_u32_e32 v9, vcc, 0, v7, vcc
	v_cmp_eq_u16_e32 vcc, 0, v11
	v_cndmask_b32_e32 v6, v8, v6, vcc
	v_cndmask_b32_e32 v7, v9, v7, vcc
	v_add_co_u32_e32 v8, vcc, 1, v6
	s_waitcnt vmcnt(1)
	v_and_b32_e32 v12, 0x7fff, v41
	v_addc_co_u32_e32 v9, vcc, 0, v7, vcc
	;; [unrolled: 7-line block ×3, first 2 shown]
	v_cmp_eq_u16_e32 vcc, 0, v13
	v_cndmask_b32_e32 v7, v9, v7, vcc
	v_cndmask_b32_e32 v6, v8, v6, vcc
	v_pk_mov_b32 v[14:15], v[6:7], v[6:7] op_sel:[0,1]
	v_pk_mov_b32 v[12:13], v[4:5], v[4:5] op_sel:[0,1]
	;; [unrolled: 1-line block ×4, first 2 shown]
	s_branch .LBB24_2
.LBB24_27:
	s_or_b64 exec, exec, s[40:41]
.LBB24_28:
	s_or_b64 exec, exec, s[34:35]
	v_cmp_lt_i64_e64 s[0:1], s[28:29], 1
	s_and_b64 vcc, exec, s[0:1]
	s_cbranch_vccnz .LBB24_126
; %bb.29:
	v_lshlrev_b64 v[8:9], 1, v[16:17]
	v_mov_b32_e32 v10, s17
	v_add_co_u32_e32 v22, vcc, s16, v8
	s_cmp_eq_u32 s42, 1
	v_addc_co_u32_e32 v23, vcc, v10, v9, vcc
	s_cselect_b64 s[2:3], -1, 0
	s_cmp_lg_u32 s42, 1
	s_cselect_b64 s[0:1], -1, 0
	v_cmp_gt_i64_e32 vcc, s[12:13], v[18:19]
	v_lshlrev_b64 v[8:9], 1, v[18:19]
	s_and_saveexec_b64 s[4:5], vcc
	s_cbranch_execz .LBB24_53
; %bb.30:
	v_mad_u64_u32 v[10:11], s[6:7], v18, s18, 0
	v_mov_b32_e32 v12, v11
	v_mad_u64_u32 v[12:13], s[6:7], v18, s19, v[12:13]
	v_mov_b32_e32 v11, v12
	v_lshlrev_b64 v[10:11], 1, v[10:11]
	v_add_co_u32_e32 v10, vcc, v22, v10
	v_addc_co_u32_e32 v11, vcc, v23, v11, vcc
	v_mov_b32_e32 v12, s17
	v_add_co_u32_e32 v21, vcc, s16, v8
	v_addc_co_u32_e32 v24, vcc, v12, v9, vcc
	v_cmp_gt_i64_e32 vcc, s[14:15], v[16:17]
	s_and_saveexec_b64 s[6:7], vcc
	s_cbranch_execz .LBB24_34
; %bb.31:
	s_andn2_b64 vcc, exec, s[2:3]
	v_pk_mov_b32 v[12:13], v[10:11], v[10:11] op_sel:[0,1]
	s_cbranch_vccnz .LBB24_33
; %bb.32:
	v_mul_lo_u32 v14, v17, s18
	v_mul_lo_u32 v15, v16, s19
	v_mad_u64_u32 v[12:13], s[8:9], v16, s18, 0
	v_add3_u32 v13, v13, v15, v14
	v_lshlrev_b64 v[12:13], 1, v[12:13]
	v_add_co_u32_e32 v12, vcc, v21, v12
	v_addc_co_u32_e32 v13, vcc, v24, v13, vcc
.LBB24_33:
	global_load_ushort v12, v[12:13], off
	s_waitcnt vmcnt(0)
	v_and_b32_e32 v12, 0x7fff, v12
	v_cmp_ne_u16_e32 vcc, 0, v12
	v_cndmask_b32_e64 v12, 0, 1, vcc
	v_add_co_u32_e32 v0, vcc, v0, v12
	v_addc_co_u32_e32 v1, vcc, 0, v1, vcc
.LBB24_34:
	s_or_b64 exec, exec, s[6:7]
	v_or_b32_e32 v12, 1, v16
	v_mov_b32_e32 v13, v17
	v_cmp_gt_i64_e32 vcc, s[14:15], v[12:13]
	s_and_saveexec_b64 s[6:7], vcc
	s_cbranch_execz .LBB24_40
; %bb.35:
	s_andn2_b64 vcc, exec, s[0:1]
	s_cbranch_vccnz .LBB24_37
; %bb.36:
	v_add_co_u32_e32 v14, vcc, 2, v10
	v_addc_co_u32_e32 v15, vcc, 0, v11, vcc
	s_cbranch_execz .LBB24_38
	s_branch .LBB24_39
.LBB24_37:
                                        ; implicit-def: $vgpr14_vgpr15
.LBB24_38:
	v_mul_lo_u32 v14, v13, s18
	v_mul_lo_u32 v15, v12, s19
	v_mad_u64_u32 v[12:13], s[8:9], v12, s18, 0
	v_add3_u32 v13, v13, v15, v14
	v_lshlrev_b64 v[12:13], 1, v[12:13]
	v_add_co_u32_e32 v14, vcc, v21, v12
	v_addc_co_u32_e32 v15, vcc, v24, v13, vcc
.LBB24_39:
	global_load_ushort v12, v[14:15], off
	s_waitcnt vmcnt(0)
	v_and_b32_e32 v12, 0x7fff, v12
	v_cmp_ne_u16_e32 vcc, 0, v12
	v_cndmask_b32_e64 v12, 0, 1, vcc
	v_add_co_u32_e32 v0, vcc, v0, v12
	v_addc_co_u32_e32 v1, vcc, 0, v1, vcc
.LBB24_40:
	s_or_b64 exec, exec, s[6:7]
	v_or_b32_e32 v12, 2, v16
	v_mov_b32_e32 v13, v17
	v_cmp_gt_i64_e32 vcc, s[14:15], v[12:13]
	s_and_saveexec_b64 s[6:7], vcc
	s_cbranch_execz .LBB24_46
; %bb.41:
	s_andn2_b64 vcc, exec, s[0:1]
	s_cbranch_vccnz .LBB24_43
; %bb.42:
	v_add_co_u32_e32 v14, vcc, 4, v10
	v_addc_co_u32_e32 v15, vcc, 0, v11, vcc
	s_cbranch_execz .LBB24_44
	s_branch .LBB24_45
.LBB24_43:
                                        ; implicit-def: $vgpr14_vgpr15
.LBB24_44:
	v_mul_lo_u32 v14, v13, s18
	v_mul_lo_u32 v15, v12, s19
	v_mad_u64_u32 v[12:13], s[8:9], v12, s18, 0
	v_add3_u32 v13, v13, v15, v14
	v_lshlrev_b64 v[12:13], 1, v[12:13]
	v_add_co_u32_e32 v14, vcc, v21, v12
	v_addc_co_u32_e32 v15, vcc, v24, v13, vcc
.LBB24_45:
	global_load_ushort v12, v[14:15], off
	s_waitcnt vmcnt(0)
	v_and_b32_e32 v12, 0x7fff, v12
	v_cmp_ne_u16_e32 vcc, 0, v12
	v_cndmask_b32_e64 v12, 0, 1, vcc
	v_add_co_u32_e32 v0, vcc, v0, v12
	v_addc_co_u32_e32 v1, vcc, 0, v1, vcc
.LBB24_46:
	s_or_b64 exec, exec, s[6:7]
	v_or_b32_e32 v12, 3, v16
	v_mov_b32_e32 v13, v17
	v_cmp_gt_i64_e32 vcc, s[14:15], v[12:13]
	s_and_saveexec_b64 s[6:7], vcc
	s_cbranch_execz .LBB24_52
; %bb.47:
	s_andn2_b64 vcc, exec, s[0:1]
	s_cbranch_vccnz .LBB24_49
; %bb.48:
	v_add_co_u32_e32 v10, vcc, 6, v10
	v_addc_co_u32_e32 v11, vcc, 0, v11, vcc
	s_cbranch_execz .LBB24_50
	s_branch .LBB24_51
.LBB24_49:
                                        ; implicit-def: $vgpr10_vgpr11
.LBB24_50:
	v_mul_lo_u32 v13, v13, s18
	v_mul_lo_u32 v14, v12, s19
	v_mad_u64_u32 v[10:11], s[8:9], v12, s18, 0
	v_add3_u32 v11, v11, v14, v13
	v_lshlrev_b64 v[10:11], 1, v[10:11]
	v_add_co_u32_e32 v10, vcc, v21, v10
	v_addc_co_u32_e32 v11, vcc, v24, v11, vcc
.LBB24_51:
	global_load_ushort v10, v[10:11], off
	s_waitcnt vmcnt(0)
	v_and_b32_e32 v10, 0x7fff, v10
	v_cmp_ne_u16_e32 vcc, 0, v10
	v_cndmask_b32_e64 v10, 0, 1, vcc
	v_add_co_u32_e32 v0, vcc, v0, v10
	v_addc_co_u32_e32 v1, vcc, 0, v1, vcc
.LBB24_52:
	s_or_b64 exec, exec, s[6:7]
.LBB24_53:
	s_or_b64 exec, exec, s[4:5]
	v_mov_b32_e32 v21, v19
	v_cmp_gt_i64_e32 vcc, s[12:13], v[20:21]
	s_and_saveexec_b64 s[4:5], vcc
	s_cbranch_execz .LBB24_77
; %bb.54:
	v_mad_u64_u32 v[10:11], s[6:7], v20, s18, 0
	v_mov_b32_e32 v12, v11
	v_mad_u64_u32 v[12:13], s[6:7], v20, s19, v[12:13]
	v_mov_b32_e32 v11, v12
	v_lshlrev_b64 v[10:11], 1, v[10:11]
	v_add_co_u32_e32 v10, vcc, v22, v10
	v_addc_co_u32_e32 v11, vcc, v23, v11, vcc
	v_mov_b32_e32 v12, s17
	v_add_co_u32_e32 v20, vcc, s16, v8
	v_addc_co_u32_e32 v21, vcc, v12, v9, vcc
	v_cmp_gt_i64_e32 vcc, s[14:15], v[16:17]
	s_and_saveexec_b64 s[6:7], vcc
	s_cbranch_execz .LBB24_58
; %bb.55:
	s_andn2_b64 vcc, exec, s[2:3]
	v_pk_mov_b32 v[12:13], v[10:11], v[10:11] op_sel:[0,1]
	s_cbranch_vccnz .LBB24_57
; %bb.56:
	v_mul_lo_u32 v14, v17, s18
	v_mul_lo_u32 v15, v16, s19
	v_mad_u64_u32 v[12:13], s[8:9], v16, s18, 0
	v_add3_u32 v13, v13, v15, v14
	v_lshlrev_b64 v[12:13], 1, v[12:13]
	v_add_co_u32_e32 v12, vcc, v20, v12
	v_addc_co_u32_e32 v13, vcc, v21, v13, vcc
	v_add_co_u32_e32 v12, vcc, 0x80, v12
	v_addc_co_u32_e32 v13, vcc, 0, v13, vcc
.LBB24_57:
	global_load_ushort v12, v[12:13], off
	s_waitcnt vmcnt(0)
	v_and_b32_e32 v12, 0x7fff, v12
	v_cmp_ne_u16_e32 vcc, 0, v12
	v_cndmask_b32_e64 v12, 0, 1, vcc
	v_add_co_u32_e32 v2, vcc, v2, v12
	v_addc_co_u32_e32 v3, vcc, 0, v3, vcc
.LBB24_58:
	s_or_b64 exec, exec, s[6:7]
	v_or_b32_e32 v12, 1, v16
	v_mov_b32_e32 v13, v17
	v_cmp_gt_i64_e32 vcc, s[14:15], v[12:13]
	s_and_saveexec_b64 s[6:7], vcc
	s_cbranch_execz .LBB24_64
; %bb.59:
	s_andn2_b64 vcc, exec, s[0:1]
	s_cbranch_vccnz .LBB24_61
; %bb.60:
	v_add_co_u32_e32 v14, vcc, 2, v10
	v_addc_co_u32_e32 v15, vcc, 0, v11, vcc
	s_cbranch_execz .LBB24_62
	s_branch .LBB24_63
.LBB24_61:
                                        ; implicit-def: $vgpr14_vgpr15
.LBB24_62:
	v_mul_lo_u32 v14, v13, s18
	v_mul_lo_u32 v15, v12, s19
	v_mad_u64_u32 v[12:13], s[8:9], v12, s18, 0
	v_add3_u32 v13, v13, v15, v14
	v_lshlrev_b64 v[12:13], 1, v[12:13]
	v_add_co_u32_e32 v12, vcc, v20, v12
	v_addc_co_u32_e32 v13, vcc, v21, v13, vcc
	v_add_co_u32_e32 v14, vcc, 0x80, v12
	v_addc_co_u32_e32 v15, vcc, 0, v13, vcc
.LBB24_63:
	global_load_ushort v12, v[14:15], off
	s_waitcnt vmcnt(0)
	v_and_b32_e32 v12, 0x7fff, v12
	v_cmp_ne_u16_e32 vcc, 0, v12
	v_cndmask_b32_e64 v12, 0, 1, vcc
	v_add_co_u32_e32 v2, vcc, v2, v12
	v_addc_co_u32_e32 v3, vcc, 0, v3, vcc
.LBB24_64:
	s_or_b64 exec, exec, s[6:7]
	v_or_b32_e32 v12, 2, v16
	v_mov_b32_e32 v13, v17
	v_cmp_gt_i64_e32 vcc, s[14:15], v[12:13]
	s_and_saveexec_b64 s[6:7], vcc
	s_cbranch_execz .LBB24_70
; %bb.65:
	s_andn2_b64 vcc, exec, s[0:1]
	s_cbranch_vccnz .LBB24_67
; %bb.66:
	v_add_co_u32_e32 v14, vcc, 4, v10
	v_addc_co_u32_e32 v15, vcc, 0, v11, vcc
	s_cbranch_execz .LBB24_68
	s_branch .LBB24_69
.LBB24_67:
                                        ; implicit-def: $vgpr14_vgpr15
.LBB24_68:
	v_mul_lo_u32 v14, v13, s18
	v_mul_lo_u32 v15, v12, s19
	v_mad_u64_u32 v[12:13], s[8:9], v12, s18, 0
	v_add3_u32 v13, v13, v15, v14
	v_lshlrev_b64 v[12:13], 1, v[12:13]
	v_add_co_u32_e32 v12, vcc, v20, v12
	v_addc_co_u32_e32 v13, vcc, v21, v13, vcc
	v_add_co_u32_e32 v14, vcc, 0x80, v12
	v_addc_co_u32_e32 v15, vcc, 0, v13, vcc
.LBB24_69:
	global_load_ushort v12, v[14:15], off
	s_waitcnt vmcnt(0)
	v_and_b32_e32 v12, 0x7fff, v12
	v_cmp_ne_u16_e32 vcc, 0, v12
	v_cndmask_b32_e64 v12, 0, 1, vcc
	v_add_co_u32_e32 v2, vcc, v2, v12
	v_addc_co_u32_e32 v3, vcc, 0, v3, vcc
.LBB24_70:
	s_or_b64 exec, exec, s[6:7]
	v_or_b32_e32 v12, 3, v16
	v_mov_b32_e32 v13, v17
	v_cmp_gt_i64_e32 vcc, s[14:15], v[12:13]
	s_and_saveexec_b64 s[6:7], vcc
	s_cbranch_execz .LBB24_76
; %bb.71:
	s_andn2_b64 vcc, exec, s[0:1]
	s_cbranch_vccnz .LBB24_73
; %bb.72:
	v_add_co_u32_e32 v10, vcc, 6, v10
	v_addc_co_u32_e32 v11, vcc, 0, v11, vcc
	s_cbranch_execz .LBB24_74
	s_branch .LBB24_75
.LBB24_73:
                                        ; implicit-def: $vgpr10_vgpr11
.LBB24_74:
	v_mul_lo_u32 v13, v13, s18
	v_mul_lo_u32 v14, v12, s19
	v_mad_u64_u32 v[10:11], s[8:9], v12, s18, 0
	v_add3_u32 v11, v11, v14, v13
	v_lshlrev_b64 v[10:11], 1, v[10:11]
	v_add_co_u32_e32 v10, vcc, v20, v10
	v_addc_co_u32_e32 v11, vcc, v21, v11, vcc
	v_add_co_u32_e32 v10, vcc, 0x80, v10
	v_addc_co_u32_e32 v11, vcc, 0, v11, vcc
.LBB24_75:
	global_load_ushort v10, v[10:11], off
	s_waitcnt vmcnt(0)
	v_and_b32_e32 v10, 0x7fff, v10
	v_cmp_ne_u16_e32 vcc, 0, v10
	v_cndmask_b32_e64 v10, 0, 1, vcc
	v_add_co_u32_e32 v2, vcc, v2, v10
	v_addc_co_u32_e32 v3, vcc, 0, v3, vcc
.LBB24_76:
	s_or_b64 exec, exec, s[6:7]
.LBB24_77:
	s_or_b64 exec, exec, s[4:5]
	v_or_b32_e32 v10, 0x80, v18
	v_mov_b32_e32 v11, v19
	v_cmp_gt_i64_e32 vcc, s[12:13], v[10:11]
	s_and_saveexec_b64 s[4:5], vcc
	s_cbranch_execz .LBB24_101
; %bb.78:
	v_mad_u64_u32 v[12:13], s[6:7], v10, s18, 0
	v_mov_b32_e32 v14, v13
	v_mad_u64_u32 v[10:11], s[6:7], v10, s19, v[14:15]
	v_mov_b32_e32 v13, v10
	v_lshlrev_b64 v[10:11], 1, v[12:13]
	v_add_co_u32_e32 v10, vcc, v22, v10
	v_addc_co_u32_e32 v11, vcc, v23, v11, vcc
	v_mov_b32_e32 v12, s17
	v_add_co_u32_e32 v20, vcc, s16, v8
	v_addc_co_u32_e32 v21, vcc, v12, v9, vcc
	v_cmp_gt_i64_e32 vcc, s[14:15], v[16:17]
	s_and_saveexec_b64 s[6:7], vcc
	s_cbranch_execz .LBB24_82
; %bb.79:
	s_andn2_b64 vcc, exec, s[2:3]
	v_pk_mov_b32 v[12:13], v[10:11], v[10:11] op_sel:[0,1]
	s_cbranch_vccnz .LBB24_81
; %bb.80:
	v_mul_lo_u32 v14, v17, s18
	v_mul_lo_u32 v15, v16, s19
	v_mad_u64_u32 v[12:13], s[8:9], v16, s18, 0
	v_add3_u32 v13, v13, v15, v14
	v_lshlrev_b64 v[12:13], 1, v[12:13]
	v_add_co_u32_e32 v12, vcc, v20, v12
	v_addc_co_u32_e32 v13, vcc, v21, v13, vcc
	v_add_co_u32_e32 v12, vcc, 0x100, v12
	v_addc_co_u32_e32 v13, vcc, 0, v13, vcc
.LBB24_81:
	global_load_ushort v12, v[12:13], off
	s_waitcnt vmcnt(0)
	v_and_b32_e32 v12, 0x7fff, v12
	v_cmp_ne_u16_e32 vcc, 0, v12
	v_cndmask_b32_e64 v12, 0, 1, vcc
	v_add_co_u32_e32 v4, vcc, v4, v12
	v_addc_co_u32_e32 v5, vcc, 0, v5, vcc
.LBB24_82:
	s_or_b64 exec, exec, s[6:7]
	v_or_b32_e32 v12, 1, v16
	v_mov_b32_e32 v13, v17
	v_cmp_gt_i64_e32 vcc, s[14:15], v[12:13]
	s_and_saveexec_b64 s[6:7], vcc
	s_cbranch_execz .LBB24_88
; %bb.83:
	s_andn2_b64 vcc, exec, s[0:1]
	s_cbranch_vccnz .LBB24_85
; %bb.84:
	v_add_co_u32_e32 v14, vcc, 2, v10
	v_addc_co_u32_e32 v15, vcc, 0, v11, vcc
	s_cbranch_execz .LBB24_86
	s_branch .LBB24_87
.LBB24_85:
                                        ; implicit-def: $vgpr14_vgpr15
.LBB24_86:
	v_mul_lo_u32 v14, v13, s18
	v_mul_lo_u32 v15, v12, s19
	v_mad_u64_u32 v[12:13], s[8:9], v12, s18, 0
	v_add3_u32 v13, v13, v15, v14
	v_lshlrev_b64 v[12:13], 1, v[12:13]
	v_add_co_u32_e32 v12, vcc, v20, v12
	v_addc_co_u32_e32 v13, vcc, v21, v13, vcc
	v_add_co_u32_e32 v14, vcc, 0x100, v12
	v_addc_co_u32_e32 v15, vcc, 0, v13, vcc
.LBB24_87:
	global_load_ushort v12, v[14:15], off
	s_waitcnt vmcnt(0)
	v_and_b32_e32 v12, 0x7fff, v12
	v_cmp_ne_u16_e32 vcc, 0, v12
	v_cndmask_b32_e64 v12, 0, 1, vcc
	v_add_co_u32_e32 v4, vcc, v4, v12
	v_addc_co_u32_e32 v5, vcc, 0, v5, vcc
.LBB24_88:
	s_or_b64 exec, exec, s[6:7]
	v_or_b32_e32 v12, 2, v16
	v_mov_b32_e32 v13, v17
	v_cmp_gt_i64_e32 vcc, s[14:15], v[12:13]
	s_and_saveexec_b64 s[6:7], vcc
	s_cbranch_execz .LBB24_94
; %bb.89:
	s_andn2_b64 vcc, exec, s[0:1]
	s_cbranch_vccnz .LBB24_91
; %bb.90:
	v_add_co_u32_e32 v14, vcc, 4, v10
	v_addc_co_u32_e32 v15, vcc, 0, v11, vcc
	s_cbranch_execz .LBB24_92
	s_branch .LBB24_93
.LBB24_91:
                                        ; implicit-def: $vgpr14_vgpr15
.LBB24_92:
	v_mul_lo_u32 v14, v13, s18
	v_mul_lo_u32 v15, v12, s19
	v_mad_u64_u32 v[12:13], s[8:9], v12, s18, 0
	v_add3_u32 v13, v13, v15, v14
	v_lshlrev_b64 v[12:13], 1, v[12:13]
	v_add_co_u32_e32 v12, vcc, v20, v12
	v_addc_co_u32_e32 v13, vcc, v21, v13, vcc
	v_add_co_u32_e32 v14, vcc, 0x100, v12
	v_addc_co_u32_e32 v15, vcc, 0, v13, vcc
.LBB24_93:
	global_load_ushort v12, v[14:15], off
	s_waitcnt vmcnt(0)
	v_and_b32_e32 v12, 0x7fff, v12
	v_cmp_ne_u16_e32 vcc, 0, v12
	v_cndmask_b32_e64 v12, 0, 1, vcc
	v_add_co_u32_e32 v4, vcc, v4, v12
	v_addc_co_u32_e32 v5, vcc, 0, v5, vcc
.LBB24_94:
	s_or_b64 exec, exec, s[6:7]
	v_or_b32_e32 v12, 3, v16
	v_mov_b32_e32 v13, v17
	v_cmp_gt_i64_e32 vcc, s[14:15], v[12:13]
	s_and_saveexec_b64 s[6:7], vcc
	s_cbranch_execz .LBB24_100
; %bb.95:
	s_andn2_b64 vcc, exec, s[0:1]
	s_cbranch_vccnz .LBB24_97
; %bb.96:
	v_add_co_u32_e32 v10, vcc, 6, v10
	v_addc_co_u32_e32 v11, vcc, 0, v11, vcc
	s_cbranch_execz .LBB24_98
	s_branch .LBB24_99
.LBB24_97:
                                        ; implicit-def: $vgpr10_vgpr11
.LBB24_98:
	v_mul_lo_u32 v13, v13, s18
	v_mul_lo_u32 v14, v12, s19
	v_mad_u64_u32 v[10:11], s[8:9], v12, s18, 0
	v_add3_u32 v11, v11, v14, v13
	v_lshlrev_b64 v[10:11], 1, v[10:11]
	v_add_co_u32_e32 v10, vcc, v20, v10
	v_addc_co_u32_e32 v11, vcc, v21, v11, vcc
	v_add_co_u32_e32 v10, vcc, 0x100, v10
	v_addc_co_u32_e32 v11, vcc, 0, v11, vcc
.LBB24_99:
	global_load_ushort v10, v[10:11], off
	s_waitcnt vmcnt(0)
	v_and_b32_e32 v10, 0x7fff, v10
	v_cmp_ne_u16_e32 vcc, 0, v10
	v_cndmask_b32_e64 v10, 0, 1, vcc
	v_add_co_u32_e32 v4, vcc, v4, v10
	v_addc_co_u32_e32 v5, vcc, 0, v5, vcc
.LBB24_100:
	s_or_b64 exec, exec, s[6:7]
.LBB24_101:
	s_or_b64 exec, exec, s[4:5]
	v_or_b32_e32 v18, 0xc0, v18
	v_cmp_gt_i64_e32 vcc, s[12:13], v[18:19]
	s_and_saveexec_b64 s[4:5], vcc
	s_cbranch_execz .LBB24_125
; %bb.102:
	v_mad_u64_u32 v[10:11], s[6:7], v18, s18, 0
	v_mov_b32_e32 v12, v11
	v_mad_u64_u32 v[12:13], s[6:7], v18, s19, v[12:13]
	v_mov_b32_e32 v11, v12
	v_lshlrev_b64 v[10:11], 1, v[10:11]
	v_add_co_u32_e32 v10, vcc, v22, v10
	v_addc_co_u32_e32 v11, vcc, v23, v11, vcc
	v_mov_b32_e32 v12, s17
	v_add_co_u32_e32 v14, vcc, s16, v8
	v_addc_co_u32_e32 v15, vcc, v12, v9, vcc
	v_cmp_gt_i64_e32 vcc, s[14:15], v[16:17]
	s_and_saveexec_b64 s[6:7], vcc
	s_cbranch_execz .LBB24_106
; %bb.103:
	s_andn2_b64 vcc, exec, s[2:3]
	v_pk_mov_b32 v[8:9], v[10:11], v[10:11] op_sel:[0,1]
	s_cbranch_vccnz .LBB24_105
; %bb.104:
	v_mul_lo_u32 v12, v17, s18
	v_mul_lo_u32 v13, v16, s19
	v_mad_u64_u32 v[8:9], s[2:3], v16, s18, 0
	v_add3_u32 v9, v9, v13, v12
	v_lshlrev_b64 v[8:9], 1, v[8:9]
	v_add_co_u32_e32 v8, vcc, v14, v8
	v_addc_co_u32_e32 v9, vcc, v15, v9, vcc
	v_add_co_u32_e32 v8, vcc, 0x180, v8
	v_addc_co_u32_e32 v9, vcc, 0, v9, vcc
.LBB24_105:
	global_load_ushort v8, v[8:9], off
	s_waitcnt vmcnt(0)
	v_and_b32_e32 v8, 0x7fff, v8
	v_cmp_ne_u16_e32 vcc, 0, v8
	v_cndmask_b32_e64 v8, 0, 1, vcc
	v_add_co_u32_e32 v6, vcc, v6, v8
	v_addc_co_u32_e32 v7, vcc, 0, v7, vcc
.LBB24_106:
	s_or_b64 exec, exec, s[6:7]
	v_or_b32_e32 v8, 1, v16
	v_mov_b32_e32 v9, v17
	v_cndmask_b32_e64 v12, 0, 1, s[0:1]
	v_cmp_gt_i64_e32 vcc, s[14:15], v[8:9]
	v_cmp_ne_u32_e64 s[0:1], 1, v12
	s_and_saveexec_b64 s[2:3], vcc
	s_cbranch_execz .LBB24_112
; %bb.107:
	s_and_b64 vcc, exec, s[0:1]
	s_cbranch_vccnz .LBB24_109
; %bb.108:
	v_add_co_u32_e32 v12, vcc, 2, v10
	v_addc_co_u32_e32 v13, vcc, 0, v11, vcc
	s_cbranch_execz .LBB24_110
	s_branch .LBB24_111
.LBB24_109:
                                        ; implicit-def: $vgpr12_vgpr13
.LBB24_110:
	v_mul_lo_u32 v12, v9, s18
	v_mul_lo_u32 v13, v8, s19
	v_mad_u64_u32 v[8:9], s[6:7], v8, s18, 0
	v_add3_u32 v9, v9, v13, v12
	v_lshlrev_b64 v[8:9], 1, v[8:9]
	v_add_co_u32_e32 v8, vcc, v14, v8
	v_addc_co_u32_e32 v9, vcc, v15, v9, vcc
	v_add_co_u32_e32 v12, vcc, 0x180, v8
	v_addc_co_u32_e32 v13, vcc, 0, v9, vcc
.LBB24_111:
	global_load_ushort v8, v[12:13], off
	s_waitcnt vmcnt(0)
	v_and_b32_e32 v8, 0x7fff, v8
	v_cmp_ne_u16_e32 vcc, 0, v8
	v_cndmask_b32_e64 v8, 0, 1, vcc
	v_add_co_u32_e32 v6, vcc, v6, v8
	v_addc_co_u32_e32 v7, vcc, 0, v7, vcc
.LBB24_112:
	s_or_b64 exec, exec, s[2:3]
	v_or_b32_e32 v8, 2, v16
	v_mov_b32_e32 v9, v17
	v_cmp_gt_i64_e32 vcc, s[14:15], v[8:9]
	s_and_saveexec_b64 s[2:3], vcc
	s_cbranch_execz .LBB24_118
; %bb.113:
	s_and_b64 vcc, exec, s[0:1]
	s_cbranch_vccnz .LBB24_115
; %bb.114:
	v_add_co_u32_e32 v12, vcc, 4, v10
	v_addc_co_u32_e32 v13, vcc, 0, v11, vcc
	s_cbranch_execz .LBB24_116
	s_branch .LBB24_117
.LBB24_115:
                                        ; implicit-def: $vgpr12_vgpr13
.LBB24_116:
	v_mul_lo_u32 v12, v9, s18
	v_mul_lo_u32 v13, v8, s19
	v_mad_u64_u32 v[8:9], s[6:7], v8, s18, 0
	v_add3_u32 v9, v9, v13, v12
	v_lshlrev_b64 v[8:9], 1, v[8:9]
	v_add_co_u32_e32 v8, vcc, v14, v8
	v_addc_co_u32_e32 v9, vcc, v15, v9, vcc
	v_add_co_u32_e32 v12, vcc, 0x180, v8
	v_addc_co_u32_e32 v13, vcc, 0, v9, vcc
.LBB24_117:
	global_load_ushort v8, v[12:13], off
	s_waitcnt vmcnt(0)
	v_and_b32_e32 v8, 0x7fff, v8
	v_cmp_ne_u16_e32 vcc, 0, v8
	v_cndmask_b32_e64 v8, 0, 1, vcc
	v_add_co_u32_e32 v6, vcc, v6, v8
	v_addc_co_u32_e32 v7, vcc, 0, v7, vcc
.LBB24_118:
	s_or_b64 exec, exec, s[2:3]
	v_or_b32_e32 v16, 3, v16
	v_cmp_gt_i64_e32 vcc, s[14:15], v[16:17]
	s_and_saveexec_b64 s[2:3], vcc
	s_cbranch_execz .LBB24_124
; %bb.119:
	s_and_b64 vcc, exec, s[0:1]
	s_cbranch_vccnz .LBB24_121
; %bb.120:
	v_add_co_u32_e32 v8, vcc, 6, v10
	v_addc_co_u32_e32 v9, vcc, 0, v11, vcc
	s_cbranch_execz .LBB24_122
	s_branch .LBB24_123
.LBB24_121:
                                        ; implicit-def: $vgpr8_vgpr9
.LBB24_122:
	v_mul_lo_u32 v10, v17, s18
	v_mul_lo_u32 v11, v16, s19
	v_mad_u64_u32 v[8:9], s[0:1], v16, s18, 0
	v_add3_u32 v9, v9, v11, v10
	v_lshlrev_b64 v[8:9], 1, v[8:9]
	v_add_co_u32_e32 v8, vcc, v14, v8
	v_addc_co_u32_e32 v9, vcc, v15, v9, vcc
	v_add_co_u32_e32 v8, vcc, 0x180, v8
	v_addc_co_u32_e32 v9, vcc, 0, v9, vcc
.LBB24_123:
	global_load_ushort v8, v[8:9], off
	s_waitcnt vmcnt(0)
	v_and_b32_e32 v8, 0x7fff, v8
	v_cmp_ne_u16_e32 vcc, 0, v8
	v_cndmask_b32_e64 v8, 0, 1, vcc
	v_add_co_u32_e32 v6, vcc, v6, v8
	v_addc_co_u32_e32 v7, vcc, 0, v7, vcc
.LBB24_124:
	s_or_b64 exec, exec, s[2:3]
.LBB24_125:
	s_or_b64 exec, exec, s[4:5]
.LBB24_126:
	v_lshlrev_b32_e32 v8, 2, v37
	s_mov_b32 s0, 0x1fffff00
	v_and_or_b32 v8, v8, s0, v38
	s_movk_i32 s0, 0x100
	v_lshlrev_b32_e32 v8, 3, v8
	v_cmp_gt_u32_e32 vcc, s0, v37
	ds_write2st64_b64 v8, v[0:1], v[2:3] offset1:1
	ds_write2st64_b64 v8, v[4:5], v[6:7] offset0:2 offset1:3
	s_waitcnt lgkmcnt(0)
	s_barrier
	s_and_saveexec_b64 s[0:1], vcc
	s_cbranch_execz .LBB24_129
; %bb.127:
	v_lshlrev_b32_e32 v10, 3, v37
	ds_read2st64_b64 v[2:5], v10 offset1:4
	ds_read2st64_b64 v[6:9], v10 offset0:8 offset1:12
	v_add_co_u32_e32 v0, vcc, s33, v37
	v_addc_co_u32_e64 v1, s[0:1], 0, 0, vcc
	s_waitcnt lgkmcnt(1)
	v_add_co_u32_e32 v2, vcc, v2, v4
	v_addc_co_u32_e32 v3, vcc, v3, v5, vcc
	s_waitcnt lgkmcnt(0)
	v_add_co_u32_e32 v6, vcc, v2, v6
	v_addc_co_u32_e32 v7, vcc, v3, v7, vcc
	ds_read2st64_b64 v[2:5], v10 offset0:16 offset1:20
	v_add_co_u32_e32 v6, vcc, v6, v8
	v_addc_co_u32_e32 v7, vcc, v7, v9, vcc
	s_waitcnt lgkmcnt(0)
	v_add_co_u32_e32 v2, vcc, v6, v2
	v_addc_co_u32_e32 v3, vcc, v7, v3, vcc
	ds_read2st64_b64 v[6:9], v10 offset0:24 offset1:28
	;; [unrolled: 6-line block ×6, first 2 shown]
	v_add_co_u32_e32 v2, vcc, v2, v4
	v_addc_co_u32_e32 v3, vcc, v3, v5, vcc
	s_waitcnt lgkmcnt(0)
	v_add_co_u32_e32 v2, vcc, v2, v6
	v_addc_co_u32_e32 v3, vcc, v3, v7, vcc
	v_add_co_u32_e32 v2, vcc, v2, v8
	v_addc_co_u32_e32 v3, vcc, v3, v9, vcc
	v_cmp_gt_i64_e32 vcc, s[12:13], v[0:1]
	ds_write_b64 v10, v[2:3]
	s_and_b64 exec, exec, vcc
	s_cbranch_execz .LBB24_129
; %bb.128:
	v_lshlrev_b64 v[0:1], 3, v[0:1]
	v_mov_b32_e32 v4, s11
	v_add_co_u32_e32 v0, vcc, s10, v0
	v_addc_co_u32_e32 v1, vcc, v4, v1, vcc
	global_store_dwordx2 v[0:1], v[2:3], off
.LBB24_129:
	s_endpgm
	.section	.rodata,"a",@progbits
	.p2align	6, 0x0
	.amdhsa_kernel _ZN9rocsparseL14nnz_kernel_rowILi64ELi16Ell18rocsparse_bfloat16EEv16rocsparse_order_T2_S3_PKT3_lPT1_
		.amdhsa_group_segment_fixed_size 32768
		.amdhsa_private_segment_fixed_size 0
		.amdhsa_kernarg_size 304
		.amdhsa_user_sgpr_count 6
		.amdhsa_user_sgpr_private_segment_buffer 1
		.amdhsa_user_sgpr_dispatch_ptr 0
		.amdhsa_user_sgpr_queue_ptr 0
		.amdhsa_user_sgpr_kernarg_segment_ptr 1
		.amdhsa_user_sgpr_dispatch_id 0
		.amdhsa_user_sgpr_flat_scratch_init 0
		.amdhsa_user_sgpr_kernarg_preload_length 0
		.amdhsa_user_sgpr_kernarg_preload_offset 0
		.amdhsa_user_sgpr_private_segment_size 0
		.amdhsa_uses_dynamic_stack 0
		.amdhsa_system_sgpr_private_segment_wavefront_offset 0
		.amdhsa_system_sgpr_workgroup_id_x 1
		.amdhsa_system_sgpr_workgroup_id_y 0
		.amdhsa_system_sgpr_workgroup_id_z 0
		.amdhsa_system_sgpr_workgroup_info 0
		.amdhsa_system_vgpr_workitem_id 1
		.amdhsa_next_free_vgpr 44
		.amdhsa_next_free_sgpr 43
		.amdhsa_accum_offset 44
		.amdhsa_reserve_vcc 1
		.amdhsa_reserve_flat_scratch 0
		.amdhsa_float_round_mode_32 0
		.amdhsa_float_round_mode_16_64 0
		.amdhsa_float_denorm_mode_32 3
		.amdhsa_float_denorm_mode_16_64 3
		.amdhsa_dx10_clamp 1
		.amdhsa_ieee_mode 1
		.amdhsa_fp16_overflow 0
		.amdhsa_tg_split 0
		.amdhsa_exception_fp_ieee_invalid_op 0
		.amdhsa_exception_fp_denorm_src 0
		.amdhsa_exception_fp_ieee_div_zero 0
		.amdhsa_exception_fp_ieee_overflow 0
		.amdhsa_exception_fp_ieee_underflow 0
		.amdhsa_exception_fp_ieee_inexact 0
		.amdhsa_exception_int_div_zero 0
	.end_amdhsa_kernel
	.section	.text._ZN9rocsparseL14nnz_kernel_rowILi64ELi16Ell18rocsparse_bfloat16EEv16rocsparse_order_T2_S3_PKT3_lPT1_,"axG",@progbits,_ZN9rocsparseL14nnz_kernel_rowILi64ELi16Ell18rocsparse_bfloat16EEv16rocsparse_order_T2_S3_PKT3_lPT1_,comdat
.Lfunc_end24:
	.size	_ZN9rocsparseL14nnz_kernel_rowILi64ELi16Ell18rocsparse_bfloat16EEv16rocsparse_order_T2_S3_PKT3_lPT1_, .Lfunc_end24-_ZN9rocsparseL14nnz_kernel_rowILi64ELi16Ell18rocsparse_bfloat16EEv16rocsparse_order_T2_S3_PKT3_lPT1_
                                        ; -- End function
	.section	.AMDGPU.csdata,"",@progbits
; Kernel info:
; codeLenInByte = 5640
; NumSgprs: 47
; NumVgprs: 44
; NumAgprs: 0
; TotalNumVgprs: 44
; ScratchSize: 0
; MemoryBound: 0
; FloatMode: 240
; IeeeMode: 1
; LDSByteSize: 32768 bytes/workgroup (compile time only)
; SGPRBlocks: 5
; VGPRBlocks: 5
; NumSGPRsForWavesPerEU: 47
; NumVGPRsForWavesPerEU: 44
; AccumOffset: 44
; Occupancy: 8
; WaveLimiterHint : 0
; COMPUTE_PGM_RSRC2:SCRATCH_EN: 0
; COMPUTE_PGM_RSRC2:USER_SGPR: 6
; COMPUTE_PGM_RSRC2:TRAP_HANDLER: 0
; COMPUTE_PGM_RSRC2:TGID_X_EN: 1
; COMPUTE_PGM_RSRC2:TGID_Y_EN: 0
; COMPUTE_PGM_RSRC2:TGID_Z_EN: 0
; COMPUTE_PGM_RSRC2:TIDIG_COMP_CNT: 1
; COMPUTE_PGM_RSRC3_GFX90A:ACCUM_OFFSET: 10
; COMPUTE_PGM_RSRC3_GFX90A:TG_SPLIT: 0
	.section	.text._ZN9rocsparseL14nnz_kernel_colILi256Ell18rocsparse_bfloat16EEv16rocsparse_order_T1_S3_PKT2_lPT0_,"axG",@progbits,_ZN9rocsparseL14nnz_kernel_colILi256Ell18rocsparse_bfloat16EEv16rocsparse_order_T1_S3_PKT2_lPT0_,comdat
	.globl	_ZN9rocsparseL14nnz_kernel_colILi256Ell18rocsparse_bfloat16EEv16rocsparse_order_T1_S3_PKT2_lPT0_ ; -- Begin function _ZN9rocsparseL14nnz_kernel_colILi256Ell18rocsparse_bfloat16EEv16rocsparse_order_T1_S3_PKT2_lPT0_
	.p2align	8
	.type	_ZN9rocsparseL14nnz_kernel_colILi256Ell18rocsparse_bfloat16EEv16rocsparse_order_T1_S3_PKT2_lPT0_,@function
_ZN9rocsparseL14nnz_kernel_colILi256Ell18rocsparse_bfloat16EEv16rocsparse_order_T1_S3_PKT2_lPT0_: ; @_ZN9rocsparseL14nnz_kernel_colILi256Ell18rocsparse_bfloat16EEv16rocsparse_order_T1_S3_PKT2_lPT0_
; %bb.0:
	s_load_dwordx2 s[8:9], s[4:5], 0x8
	s_load_dword s12, s[4:5], 0x0
	s_load_dwordx4 s[0:3], s[4:5], 0x18
	s_mov_b32 s7, 0
	v_mov_b32_e32 v1, 0
	s_waitcnt lgkmcnt(0)
	s_ashr_i32 s10, s9, 31
	s_lshr_b32 s10, s10, 24
	s_add_u32 s10, s8, s10
	s_addc_u32 s11, s9, 0
	s_and_b32 s10, s10, 0xffffff00
	s_cmp_eq_u32 s12, 1
	s_cbranch_scc1 .LBB25_6
; %bb.1:
	v_mov_b32_e32 v2, 0x100
	v_mov_b32_e32 v3, 0
	v_cmp_lt_i64_e32 vcc, s[8:9], v[2:3]
	v_pk_mov_b32 v[2:3], 0, 0
	s_cbranch_vccnz .LBB25_7
; %bb.2:
	v_mad_u64_u32 v[2:3], s[12:13], s2, v0, 0
	v_mov_b32_e32 v4, v3
	v_mad_u64_u32 v[4:5], s[12:13], s3, v0, v[4:5]
	s_lshl_b64 s[12:13], s[6:7], 1
	v_mov_b32_e32 v3, v4
	s_add_u32 s12, s0, s12
	v_lshlrev_b64 v[2:3], 1, v[2:3]
	s_addc_u32 s13, s1, s13
	v_mov_b32_e32 v5, s13
	v_add_co_u32_e32 v4, vcc, s12, v2
	s_lshl_b64 s[12:13], s[2:3], 9
	v_addc_co_u32_e32 v5, vcc, v5, v3, vcc
	s_mov_b64 s[14:15], 0
	v_pk_mov_b32 v[2:3], 0, 0
	v_mov_b32_e32 v8, s13
	v_pk_mov_b32 v[6:7], s[10:11], s[10:11] op_sel:[0,1]
	s_branch .LBB25_4
.LBB25_3:                               ;   in Loop: Header=BB25_4 Depth=1
	s_or_b64 exec, exec, s[16:17]
	s_add_u32 s14, s14, 0x100
	v_add_co_u32_e32 v4, vcc, s12, v4
	s_addc_u32 s15, s15, 0
	v_addc_co_u32_e32 v5, vcc, v5, v8, vcc
	v_cmp_ge_i64_e32 vcc, s[14:15], v[6:7]
	s_cbranch_vccnz .LBB25_7
.LBB25_4:                               ; =>This Inner Loop Header: Depth=1
	v_mov_b32_e32 v9, s15
	v_add_co_u32_e32 v10, vcc, s14, v0
	v_addc_co_u32_e32 v11, vcc, 0, v9, vcc
	v_cmp_gt_i64_e32 vcc, s[8:9], v[10:11]
	s_and_saveexec_b64 s[16:17], vcc
	s_cbranch_execz .LBB25_3
; %bb.5:                                ;   in Loop: Header=BB25_4 Depth=1
	global_load_ushort v9, v[4:5], off
	s_waitcnt vmcnt(0)
	v_and_b32_e32 v9, 0x7fff, v9
	v_cmp_ne_u16_e32 vcc, 0, v9
	v_cndmask_b32_e64 v9, 0, 1, vcc
	v_add_co_u32_e32 v2, vcc, v2, v9
	v_addc_co_u32_e32 v3, vcc, 0, v3, vcc
	s_branch .LBB25_3
.LBB25_6:
	s_mov_b64 s[12:13], 0
                                        ; implicit-def: $vgpr2_vgpr3
                                        ; implicit-def: $vgpr4_vgpr5
	s_cbranch_execnz .LBB25_10
	s_branch .LBB25_16
.LBB25_7:
	v_mov_b32_e32 v4, s11
	v_add_co_u32_e32 v6, vcc, s10, v0
	v_addc_co_u32_e32 v7, vcc, 0, v4, vcc
	v_cmp_gt_i64_e32 vcc, s[8:9], v[6:7]
	s_mov_b64 s[14:15], 0
	s_mov_b64 s[12:13], 0
                                        ; implicit-def: $vgpr4_vgpr5
	s_and_saveexec_b64 s[16:17], vcc
	s_xor_b64 s[16:17], exec, s[16:17]
	s_cbranch_execz .LBB25_9
; %bb.8:
	v_mad_u64_u32 v[4:5], s[18:19], v6, s2, 0
	v_mul_lo_u32 v7, v7, s2
	v_mul_lo_u32 v8, v6, s3
	s_lshl_b64 s[18:19], s[6:7], 1
	v_add3_u32 v5, v5, v8, v7
	s_add_u32 s18, s18, s0
	v_lshlrev_b64 v[4:5], 1, v[4:5]
	s_addc_u32 s19, s19, s1
	v_mov_b32_e32 v6, s19
	v_add_co_u32_e32 v4, vcc, s18, v4
	s_mov_b64 s[12:13], exec
	v_addc_co_u32_e32 v5, vcc, v6, v5, vcc
.LBB25_9:
	s_or_b64 exec, exec, s[16:17]
	s_and_b64 vcc, exec, s[14:15]
	s_cbranch_vccz .LBB25_16
.LBB25_10:
	s_mul_i32 s3, s6, s3
	s_mul_hi_u32 s14, s6, s2
	s_add_i32 s3, s14, s3
	s_mul_i32 s2, s6, s2
	s_lshl_b64 s[2:3], s[2:3], 1
	v_cmp_gt_i64_e32 vcc, s[8:9], v[0:1]
	s_add_u32 s0, s0, s2
	v_cndmask_b32_e32 v1, 0, v0, vcc
	s_addc_u32 s1, s1, s3
	v_lshlrev_b32_e32 v1, 1, v1
	v_mov_b32_e32 v2, s1
	v_add_co_u32_e32 v6, vcc, s0, v1
	v_addc_co_u32_e32 v7, vcc, 0, v2, vcc
	v_mov_b32_e32 v2, 0x100
	v_mov_b32_e32 v3, 0
	v_cmp_lt_i64_e32 vcc, s[8:9], v[2:3]
	v_pk_mov_b32 v[2:3], 0, 0
	s_cbranch_vccnz .LBB25_13
; %bb.11:
	s_mov_b64 s[2:3], 0
	v_pk_mov_b32 v[2:3], 0, 0
	v_pk_mov_b32 v[4:5], s[10:11], s[10:11] op_sel:[0,1]
	v_pk_mov_b32 v[8:9], v[6:7], v[6:7] op_sel:[0,1]
.LBB25_12:                              ; =>This Inner Loop Header: Depth=1
	global_load_ushort v1, v[8:9], off
	s_add_u32 s2, s2, 0x100
	v_add_co_u32_e32 v8, vcc, 0x200, v8
	s_addc_u32 s3, s3, 0
	v_addc_co_u32_e32 v9, vcc, 0, v9, vcc
	v_cmp_ge_i64_e32 vcc, s[2:3], v[4:5]
	s_and_b64 vcc, exec, vcc
	s_waitcnt vmcnt(0)
	v_and_b32_e32 v1, 0x7fff, v1
	v_cmp_ne_u16_e64 s[0:1], 0, v1
	v_cndmask_b32_e64 v1, 0, 1, s[0:1]
	v_add_co_u32_e64 v2, s[0:1], v2, v1
	v_addc_co_u32_e64 v3, s[0:1], 0, v3, s[0:1]
	s_cbranch_vccz .LBB25_12
.LBB25_13:
	v_mov_b32_e32 v1, s11
	v_add_co_u32_e32 v4, vcc, s10, v0
	v_addc_co_u32_e32 v5, vcc, 0, v1, vcc
	v_cmp_gt_i64_e32 vcc, s[8:9], v[4:5]
                                        ; implicit-def: $vgpr4_vgpr5
	s_and_saveexec_b64 s[0:1], vcc
; %bb.14:
	s_lshl_b64 s[2:3], s[10:11], 1
	v_mov_b32_e32 v1, s3
	v_add_co_u32_e32 v4, vcc, s2, v6
	v_addc_co_u32_e32 v5, vcc, v7, v1, vcc
	s_or_b64 s[12:13], s[12:13], exec
; %bb.15:
	s_or_b64 exec, exec, s[0:1]
.LBB25_16:
	s_and_saveexec_b64 s[0:1], s[12:13]
	s_cbranch_execz .LBB25_18
; %bb.17:
	global_load_ushort v1, v[4:5], off
	s_waitcnt vmcnt(0)
	v_and_b32_e32 v1, 0x7fff, v1
	v_cmp_ne_u16_e32 vcc, 0, v1
	v_cndmask_b32_e64 v1, 0, 1, vcc
	v_add_co_u32_e32 v2, vcc, v2, v1
	v_addc_co_u32_e32 v3, vcc, 0, v3, vcc
.LBB25_18:
	s_or_b64 exec, exec, s[0:1]
	v_lshlrev_b32_e32 v1, 3, v0
	ds_write_b64 v1, v[2:3]
	v_mov_b32_e32 v2, 0x100
	v_mov_b32_e32 v3, 0
	v_cmp_lt_i64_e32 vcc, s[8:9], v[2:3]
	s_mov_b64 s[2:3], -1
	v_cmp_eq_u32_e64 s[0:1], 0, v0
	s_waitcnt lgkmcnt(0)
	s_cbranch_vccnz .LBB25_22
; %bb.19:
	s_and_b64 vcc, exec, s[2:3]
	s_cbranch_vccnz .LBB25_31
.LBB25_20:
	v_cmp_eq_u32_e32 vcc, 0, v0
	s_and_saveexec_b64 s[0:1], vcc
	s_cbranch_execnz .LBB25_48
.LBB25_21:
	s_endpgm
.LBB25_22:
	v_cmp_gt_i64_e64 s[2:3], s[8:9], 1
	s_mov_b64 s[10:11], 1
	s_and_b64 s[2:3], s[0:1], s[2:3]
	s_barrier
	s_and_saveexec_b64 s[0:1], s[2:3]
	s_cbranch_execz .LBB25_30
; %bb.23:
	v_mov_b32_e32 v2, 0
	s_add_u32 s11, s8, -1
	ds_read_b64 v[2:3], v2
	s_addc_u32 s3, s9, -1
	s_add_u32 s8, s8, -2
	s_addc_u32 s9, s9, -1
	v_cmp_lt_u64_e64 s[8:9], s[8:9], 7
	s_and_b64 vcc, exec, s[8:9]
	s_cbranch_vccnz .LBB25_26
; %bb.24:
	s_and_b32 s2, s11, -8
	s_mov_b64 s[8:9], 0
	s_mov_b32 s12, 8
.LBB25_25:                              ; =>This Inner Loop Header: Depth=1
	v_mov_b32_e32 v16, s12
	ds_read2_b64 v[4:7], v16 offset1:1
	ds_read2_b64 v[8:11], v16 offset0:2 offset1:3
	ds_read2_b64 v[12:15], v16 offset0:4 offset1:5
	;; [unrolled: 1-line block ×3, first 2 shown]
	s_add_u32 s14, s8, 8
	s_waitcnt lgkmcnt(3)
	v_add_co_u32_e32 v2, vcc, v2, v4
	v_addc_co_u32_e32 v3, vcc, v3, v5, vcc
	v_add_co_u32_e32 v2, vcc, v2, v6
	v_addc_co_u32_e32 v3, vcc, v3, v7, vcc
	s_waitcnt lgkmcnt(2)
	v_add_co_u32_e32 v2, vcc, v2, v8
	v_addc_co_u32_e32 v3, vcc, v3, v9, vcc
	v_add_co_u32_e32 v2, vcc, v2, v10
	v_addc_co_u32_e32 v3, vcc, v3, v11, vcc
	;; [unrolled: 5-line block ×3, first 2 shown]
	s_waitcnt lgkmcnt(0)
	v_add_co_u32_e32 v2, vcc, v2, v16
	v_addc_co_u32_e32 v3, vcc, v3, v17, vcc
	s_addc_u32 s15, s9, 0
	s_add_i32 s12, s12, 64
	s_add_u32 s10, s8, 9
	v_add_co_u32_e32 v2, vcc, v2, v18
	s_cmp_lg_u64 s[2:3], s[14:15]
	s_mov_b64 s[8:9], s[14:15]
	v_addc_co_u32_e32 v3, vcc, v3, v19, vcc
	s_cbranch_scc1 .LBB25_25
.LBB25_26:
	s_and_b32 s2, s11, 7
	s_mov_b32 s3, 0
	s_cmp_eq_u64 s[2:3], 0
	s_cbranch_scc1 .LBB25_29
; %bb.27:
	s_lshl_b32 s8, s10, 3
.LBB25_28:                              ; =>This Inner Loop Header: Depth=1
	v_mov_b32_e32 v4, s8
	ds_read_b64 v[4:5], v4
	s_add_i32 s8, s8, 8
	s_add_u32 s2, s2, -1
	s_addc_u32 s3, s3, -1
	s_cmp_lg_u64 s[2:3], 0
	s_waitcnt lgkmcnt(0)
	v_add_co_u32_e32 v2, vcc, v2, v4
	v_addc_co_u32_e32 v3, vcc, v3, v5, vcc
	s_cbranch_scc1 .LBB25_28
.LBB25_29:
	v_mov_b32_e32 v4, 0
	s_waitcnt lgkmcnt(0)
	ds_write_b64 v4, v[2:3]
.LBB25_30:
	s_or_b64 exec, exec, s[0:1]
	s_waitcnt lgkmcnt(0)
	s_barrier
	s_branch .LBB25_20
.LBB25_31:
	s_movk_i32 s0, 0x80
	v_cmp_gt_u32_e32 vcc, s0, v0
	s_barrier
	s_and_saveexec_b64 s[0:1], vcc
	s_cbranch_execz .LBB25_33
; %bb.32:
	ds_read2st64_b64 v[2:5], v1 offset1:2
	s_waitcnt lgkmcnt(0)
	v_add_co_u32_e32 v2, vcc, v2, v4
	v_addc_co_u32_e32 v3, vcc, v3, v5, vcc
	ds_write_b64 v1, v[2:3]
.LBB25_33:
	s_or_b64 exec, exec, s[0:1]
	v_cmp_gt_u32_e32 vcc, 64, v0
	s_waitcnt lgkmcnt(0)
	s_barrier
	s_and_saveexec_b64 s[0:1], vcc
	s_cbranch_execz .LBB25_35
; %bb.34:
	ds_read2st64_b64 v[2:5], v1 offset1:1
	s_waitcnt lgkmcnt(0)
	v_add_co_u32_e32 v2, vcc, v2, v4
	v_addc_co_u32_e32 v3, vcc, v3, v5, vcc
	ds_write_b64 v1, v[2:3]
.LBB25_35:
	s_or_b64 exec, exec, s[0:1]
	v_cmp_gt_u32_e32 vcc, 32, v0
	s_waitcnt lgkmcnt(0)
	s_barrier
	s_and_saveexec_b64 s[0:1], vcc
	s_cbranch_execz .LBB25_37
; %bb.36:
	ds_read2_b64 v[2:5], v1 offset1:32
	s_waitcnt lgkmcnt(0)
	v_add_co_u32_e32 v2, vcc, v2, v4
	v_addc_co_u32_e32 v3, vcc, v3, v5, vcc
	ds_write_b64 v1, v[2:3]
.LBB25_37:
	s_or_b64 exec, exec, s[0:1]
	v_cmp_gt_u32_e32 vcc, 16, v0
	s_waitcnt lgkmcnt(0)
	s_barrier
	s_and_saveexec_b64 s[0:1], vcc
	s_cbranch_execz .LBB25_39
; %bb.38:
	ds_read2_b64 v[2:5], v1 offset1:16
	s_waitcnt lgkmcnt(0)
	v_add_co_u32_e32 v2, vcc, v2, v4
	v_addc_co_u32_e32 v3, vcc, v3, v5, vcc
	ds_write_b64 v1, v[2:3]
.LBB25_39:
	;; [unrolled: 13-line block ×5, first 2 shown]
	s_or_b64 exec, exec, s[0:1]
	v_cmp_eq_u32_e32 vcc, 0, v0
	s_waitcnt lgkmcnt(0)
	s_barrier
	s_and_saveexec_b64 s[0:1], vcc
	s_cbranch_execz .LBB25_47
; %bb.46:
	v_mov_b32_e32 v1, 0
	ds_read_b128 v[2:5], v1
	s_waitcnt lgkmcnt(0)
	v_add_co_u32_e32 v2, vcc, v2, v4
	v_addc_co_u32_e32 v3, vcc, v3, v5, vcc
	ds_write_b64 v1, v[2:3]
.LBB25_47:
	s_or_b64 exec, exec, s[0:1]
	s_waitcnt lgkmcnt(0)
	s_barrier
	v_cmp_eq_u32_e32 vcc, 0, v0
	s_and_saveexec_b64 s[0:1], vcc
	s_cbranch_execz .LBB25_21
.LBB25_48:
	s_load_dwordx2 s[0:1], s[4:5], 0x28
	v_mov_b32_e32 v2, 0
	ds_read_b64 v[0:1], v2
	s_lshl_b64 s[2:3], s[6:7], 3
	s_waitcnt lgkmcnt(0)
	s_add_u32 s0, s0, s2
	s_addc_u32 s1, s1, s3
	global_store_dwordx2 v2, v[0:1], s[0:1]
	s_endpgm
	.section	.rodata,"a",@progbits
	.p2align	6, 0x0
	.amdhsa_kernel _ZN9rocsparseL14nnz_kernel_colILi256Ell18rocsparse_bfloat16EEv16rocsparse_order_T1_S3_PKT2_lPT0_
		.amdhsa_group_segment_fixed_size 2048
		.amdhsa_private_segment_fixed_size 0
		.amdhsa_kernarg_size 48
		.amdhsa_user_sgpr_count 6
		.amdhsa_user_sgpr_private_segment_buffer 1
		.amdhsa_user_sgpr_dispatch_ptr 0
		.amdhsa_user_sgpr_queue_ptr 0
		.amdhsa_user_sgpr_kernarg_segment_ptr 1
		.amdhsa_user_sgpr_dispatch_id 0
		.amdhsa_user_sgpr_flat_scratch_init 0
		.amdhsa_user_sgpr_kernarg_preload_length 0
		.amdhsa_user_sgpr_kernarg_preload_offset 0
		.amdhsa_user_sgpr_private_segment_size 0
		.amdhsa_uses_dynamic_stack 0
		.amdhsa_system_sgpr_private_segment_wavefront_offset 0
		.amdhsa_system_sgpr_workgroup_id_x 1
		.amdhsa_system_sgpr_workgroup_id_y 0
		.amdhsa_system_sgpr_workgroup_id_z 0
		.amdhsa_system_sgpr_workgroup_info 0
		.amdhsa_system_vgpr_workitem_id 0
		.amdhsa_next_free_vgpr 20
		.amdhsa_next_free_sgpr 20
		.amdhsa_accum_offset 20
		.amdhsa_reserve_vcc 1
		.amdhsa_reserve_flat_scratch 0
		.amdhsa_float_round_mode_32 0
		.amdhsa_float_round_mode_16_64 0
		.amdhsa_float_denorm_mode_32 3
		.amdhsa_float_denorm_mode_16_64 3
		.amdhsa_dx10_clamp 1
		.amdhsa_ieee_mode 1
		.amdhsa_fp16_overflow 0
		.amdhsa_tg_split 0
		.amdhsa_exception_fp_ieee_invalid_op 0
		.amdhsa_exception_fp_denorm_src 0
		.amdhsa_exception_fp_ieee_div_zero 0
		.amdhsa_exception_fp_ieee_overflow 0
		.amdhsa_exception_fp_ieee_underflow 0
		.amdhsa_exception_fp_ieee_inexact 0
		.amdhsa_exception_int_div_zero 0
	.end_amdhsa_kernel
	.section	.text._ZN9rocsparseL14nnz_kernel_colILi256Ell18rocsparse_bfloat16EEv16rocsparse_order_T1_S3_PKT2_lPT0_,"axG",@progbits,_ZN9rocsparseL14nnz_kernel_colILi256Ell18rocsparse_bfloat16EEv16rocsparse_order_T1_S3_PKT2_lPT0_,comdat
.Lfunc_end25:
	.size	_ZN9rocsparseL14nnz_kernel_colILi256Ell18rocsparse_bfloat16EEv16rocsparse_order_T1_S3_PKT2_lPT0_, .Lfunc_end25-_ZN9rocsparseL14nnz_kernel_colILi256Ell18rocsparse_bfloat16EEv16rocsparse_order_T1_S3_PKT2_lPT0_
                                        ; -- End function
	.section	.AMDGPU.csdata,"",@progbits
; Kernel info:
; codeLenInByte = 1588
; NumSgprs: 24
; NumVgprs: 20
; NumAgprs: 0
; TotalNumVgprs: 20
; ScratchSize: 0
; MemoryBound: 0
; FloatMode: 240
; IeeeMode: 1
; LDSByteSize: 2048 bytes/workgroup (compile time only)
; SGPRBlocks: 2
; VGPRBlocks: 2
; NumSGPRsForWavesPerEU: 24
; NumVGPRsForWavesPerEU: 20
; AccumOffset: 20
; Occupancy: 8
; WaveLimiterHint : 0
; COMPUTE_PGM_RSRC2:SCRATCH_EN: 0
; COMPUTE_PGM_RSRC2:USER_SGPR: 6
; COMPUTE_PGM_RSRC2:TRAP_HANDLER: 0
; COMPUTE_PGM_RSRC2:TGID_X_EN: 1
; COMPUTE_PGM_RSRC2:TGID_Y_EN: 0
; COMPUTE_PGM_RSRC2:TGID_Z_EN: 0
; COMPUTE_PGM_RSRC2:TIDIG_COMP_CNT: 0
; COMPUTE_PGM_RSRC3_GFX90A:ACCUM_OFFSET: 4
; COMPUTE_PGM_RSRC3_GFX90A:TG_SPLIT: 0
	.section	.text._ZN9rocsparseL14nnz_kernel_rowILi64ELi16EllDF16_EEv16rocsparse_order_T2_S2_PKT3_lPT1_,"axG",@progbits,_ZN9rocsparseL14nnz_kernel_rowILi64ELi16EllDF16_EEv16rocsparse_order_T2_S2_PKT3_lPT1_,comdat
	.globl	_ZN9rocsparseL14nnz_kernel_rowILi64ELi16EllDF16_EEv16rocsparse_order_T2_S2_PKT3_lPT1_ ; -- Begin function _ZN9rocsparseL14nnz_kernel_rowILi64ELi16EllDF16_EEv16rocsparse_order_T2_S2_PKT3_lPT1_
	.p2align	8
	.type	_ZN9rocsparseL14nnz_kernel_rowILi64ELi16EllDF16_EEv16rocsparse_order_T2_S2_PKT3_lPT1_,@function
_ZN9rocsparseL14nnz_kernel_rowILi64ELi16EllDF16_EEv16rocsparse_order_T2_S2_PKT3_lPT1_: ; @_ZN9rocsparseL14nnz_kernel_rowILi64ELi16EllDF16_EEv16rocsparse_order_T2_S2_PKT3_lPT1_
; %bb.0:
	s_load_dword s0, s[4:5], 0x3c
	s_load_dwordx2 s[10:11], s[4:5], 0x28
	s_load_dword s42, s[4:5], 0x0
	s_load_dwordx8 s[12:19], s[4:5], 0x8
	v_and_b32_e32 v1, 0x3ff, v0
	s_waitcnt lgkmcnt(0)
	s_and_b32 s0, s0, 0xffff
	v_bfe_u32 v0, v0, 10, 10
	v_mad_u32_u24 v37, v0, s0, v1
	s_ashr_i32 s0, s15, 31
	s_lshl_b32 s33, s6, 8
	s_lshr_b32 s0, s0, 26
	s_mov_b32 s20, 0
	s_add_u32 s0, s14, s0
	v_mov_b32_e32 v19, 0
	v_and_b32_e32 v38, 63, v37
	s_addc_u32 s31, s15, 0
	s_and_b32 s30, s0, 0xffffffc0
	v_lshrrev_b32_e32 v0, 4, v37
	s_mov_b32 s21, s20
	v_or_b32_e32 v18, s33, v38
	s_sub_u32 s28, s14, s30
	v_and_b32_e32 v16, 0x7ffffc, v0
	v_mov_b32_e32 v17, v19
	s_mov_b32 s22, s20
	s_mov_b32 s23, s20
	s_mov_b32 s24, s20
	s_mov_b32 s25, s20
	s_mov_b32 s26, s20
	s_mov_b32 s27, s20
	v_pk_mov_b32 v[0:1], s[20:21], s[20:21] op_sel:[0,1]
	s_subb_u32 s29, s15, s31
	v_cmp_gt_i64_e32 vcc, s[30:31], v[16:17]
	v_pk_mov_b32 v[2:3], s[22:23], s[22:23] op_sel:[0,1]
	v_pk_mov_b32 v[4:5], s[24:25], s[24:25] op_sel:[0,1]
	;; [unrolled: 1-line block ×3, first 2 shown]
	v_or_b32_e32 v20, 64, v18
	s_and_saveexec_b64 s[34:35], vcc
	s_cbranch_execz .LBB26_28
; %bb.1:
	v_or_b32_e32 v0, 0x80, v18
	v_mov_b32_e32 v1, v19
	v_cmp_gt_i64_e64 s[4:5], s[12:13], v[0:1]
	v_or_b32_e32 v0, 0xc0, v18
	v_cmp_gt_i64_e64 s[6:7], s[12:13], v[0:1]
	v_add_co_u32_e32 v0, vcc, s33, v38
	v_addc_co_u32_e64 v1, s[8:9], 0, 0, vcc
	v_mul_lo_u32 v4, s19, v0
	v_mul_lo_u32 v5, s18, v1
	v_mad_u64_u32 v[2:3], s[8:9], s18, v0, 0
	v_add3_u32 v3, v3, v5, v4
	v_lshrrev_b32_e32 v5, 6, v37
	v_lshlrev_b64 v[2:3], 1, v[2:3]
	v_lshlrev_b32_e32 v4, 3, v5
	v_mov_b32_e32 v21, v19
	v_add_co_u32_e32 v22, vcc, v2, v4
	v_cmp_gt_i64_e64 s[2:3], s[12:13], v[20:21]
	v_addc_co_u32_e32 v21, vcc, 0, v3, vcc
	v_add_co_u32_e32 v2, vcc, 64, v0
	v_addc_co_u32_e32 v3, vcc, 0, v1, vcc
	v_mul_lo_u32 v6, s19, v2
	v_mul_lo_u32 v7, s18, v3
	v_mad_u64_u32 v[2:3], s[8:9], s18, v2, 0
	v_add3_u32 v3, v3, v7, v6
	v_lshlrev_b64 v[2:3], 1, v[2:3]
	v_add_co_u32_e32 v24, vcc, v2, v4
	s_movk_i32 s38, 0x80
	v_addc_co_u32_e32 v23, vcc, 0, v3, vcc
	v_add_co_u32_e32 v2, vcc, s38, v0
	v_addc_co_u32_e32 v3, vcc, 0, v1, vcc
	v_mul_lo_u32 v6, s19, v2
	v_mul_lo_u32 v7, s18, v3
	v_mad_u64_u32 v[2:3], s[8:9], s18, v2, 0
	v_add3_u32 v3, v3, v7, v6
	v_lshlrev_b64 v[2:3], 1, v[2:3]
	v_add_co_u32_e32 v26, vcc, v2, v4
	s_movk_i32 s39, 0xc0
	v_addc_co_u32_e32 v25, vcc, 0, v3, vcc
	v_add_co_u32_e32 v2, vcc, s39, v0
	v_addc_co_u32_e32 v3, vcc, 0, v1, vcc
	v_mul_lo_u32 v6, s19, v2
	v_mul_lo_u32 v7, s18, v3
	v_mad_u64_u32 v[2:3], s[8:9], s18, v2, 0
	v_add3_u32 v3, v3, v7, v6
	v_lshlrev_b64 v[2:3], 1, v[2:3]
	v_add_co_u32_e32 v28, vcc, v2, v4
	v_addc_co_u32_e32 v27, vcc, 0, v3, vcc
	v_or_b32_e32 v3, 6, v4
	v_lshlrev_b64 v[0:1], 1, v[0:1]
	v_mad_u64_u32 v[30:31], s[8:9], s18, v3, v[0:1]
	v_mov_b32_e32 v2, v31
	v_mad_u64_u32 v[2:3], s[8:9], s19, v3, v[2:3]
	v_or_b32_e32 v3, 4, v4
	v_mad_u64_u32 v[32:33], s[8:9], s18, v3, v[0:1]
	v_mov_b32_e32 v29, v2
	v_mov_b32_e32 v2, v33
	v_mad_u64_u32 v[2:3], s[8:9], s19, v3, v[2:3]
	v_or_b32_e32 v3, 2, v4
	v_mad_u64_u32 v[34:35], s[8:9], s18, v3, v[0:1]
	v_mov_b32_e32 v31, v2
	v_mov_b32_e32 v2, v35
	v_mad_u64_u32 v[2:3], s[8:9], s19, v3, v[2:3]
	v_mov_b32_e32 v33, v2
	v_mad_u64_u32 v[2:3], s[8:9], s18, v5, 0
	;; [unrolled: 2-line block ×3, first 2 shown]
	v_mov_b32_e32 v3, v4
	v_lshlrev_b64 v[2:3], 3, v[2:3]
	v_add_co_u32_e32 v36, vcc, v2, v0
	s_cmp_lg_u32 s42, 1
	v_addc_co_u32_e32 v35, vcc, v3, v1, vcc
	v_pk_mov_b32 v[0:1], s[20:21], s[20:21] op_sel:[0,1]
	s_cselect_b64 s[36:37], -1, 0
	v_cmp_gt_i64_e64 s[0:1], s[12:13], v[18:19]
	s_lshl_b64 s[38:39], s[18:19], 7
	s_mov_b64 s[40:41], 0
	v_pk_mov_b32 v[2:3], s[22:23], s[22:23] op_sel:[0,1]
	v_pk_mov_b32 v[4:5], s[24:25], s[24:25] op_sel:[0,1]
	;; [unrolled: 1-line block ×3, first 2 shown]
	s_branch .LBB26_4
.LBB26_2:                               ;   in Loop: Header=BB26_4 Depth=1
	v_pk_mov_b32 v[0:1], v[8:9], v[8:9] op_sel:[0,1]
	v_pk_mov_b32 v[2:3], v[10:11], v[10:11] op_sel:[0,1]
	;; [unrolled: 1-line block ×4, first 2 shown]
.LBB26_3:                               ;   in Loop: Header=BB26_4 Depth=1
	s_or_b64 exec, exec, s[20:21]
	v_add_co_u32_e32 v16, vcc, 64, v16
	v_addc_co_u32_e32 v17, vcc, 0, v17, vcc
	v_add_co_u32_e32 v22, vcc, 0x80, v22
	v_addc_co_u32_e32 v21, vcc, 0, v21, vcc
	v_add_co_u32_e32 v24, vcc, 0x80, v24
	v_addc_co_u32_e32 v23, vcc, 0, v23, vcc
	v_add_co_u32_e32 v26, vcc, 0x80, v26
	v_addc_co_u32_e32 v25, vcc, 0, v25, vcc
	v_add_co_u32_e32 v28, vcc, 0x80, v28
	v_addc_co_u32_e32 v27, vcc, 0, v27, vcc
	v_mov_b32_e32 v8, s39
	v_add_co_u32_e32 v30, vcc, s38, v30
	v_addc_co_u32_e32 v29, vcc, v29, v8, vcc
	v_add_co_u32_e32 v32, vcc, s38, v32
	v_addc_co_u32_e32 v31, vcc, v31, v8, vcc
	;; [unrolled: 2-line block ×3, first 2 shown]
	v_cmp_le_i64_e32 vcc, s[30:31], v[16:17]
	s_or_b64 s[40:41], vcc, s[40:41]
	v_add_co_u32_e32 v36, vcc, s38, v36
	v_addc_co_u32_e32 v35, vcc, v35, v8, vcc
	s_andn2_b64 exec, exec, s[40:41]
	s_cbranch_execz .LBB26_27
.LBB26_4:                               ; =>This Inner Loop Header: Depth=1
	v_cndmask_b32_e64 v8, 0, 1, s[36:37]
	v_cmp_ne_u32_e64 s[8:9], 1, v8
	s_and_saveexec_b64 s[20:21], s[0:1]
	s_cbranch_execnz .LBB26_8
; %bb.5:                                ;   in Loop: Header=BB26_4 Depth=1
	s_or_b64 exec, exec, s[20:21]
	s_and_saveexec_b64 s[20:21], s[2:3]
	s_cbranch_execnz .LBB26_13
.LBB26_6:                               ;   in Loop: Header=BB26_4 Depth=1
	s_or_b64 exec, exec, s[20:21]
	s_and_saveexec_b64 s[20:21], s[4:5]
	s_cbranch_execnz .LBB26_18
.LBB26_7:                               ;   in Loop: Header=BB26_4 Depth=1
	s_or_b64 exec, exec, s[20:21]
	s_and_saveexec_b64 s[20:21], s[6:7]
	s_cbranch_execz .LBB26_3
	s_branch .LBB26_23
.LBB26_8:                               ;   in Loop: Header=BB26_4 Depth=1
	s_and_b64 vcc, exec, s[8:9]
	s_cbranch_vccnz .LBB26_10
; %bb.9:                                ;   in Loop: Header=BB26_4 Depth=1
	v_mov_b32_e32 v9, s17
	v_add_co_u32_e32 v8, vcc, s16, v22
	v_addc_co_u32_e32 v9, vcc, v9, v21, vcc
	global_load_dwordx2 v[8:9], v[8:9], off
	v_add_co_u32_e32 v39, vcc, 1, v0
	v_addc_co_u32_e32 v40, vcc, 0, v1, vcc
	v_mov_b32_e32 v10, v2
	v_mov_b32_e32 v11, v3
	;; [unrolled: 1-line block ×6, first 2 shown]
	s_waitcnt vmcnt(0)
	v_cmp_neq_f16_e32 vcc, 0, v8
	v_cndmask_b32_e32 v39, v0, v39, vcc
	v_cndmask_b32_e32 v40, v1, v40, vcc
	v_add_co_u32_e32 v41, vcc, 1, v39
	v_addc_co_u32_e32 v42, vcc, 0, v40, vcc
	v_cmp_neq_f16_sdwa vcc, v8, v19 src0_sel:WORD_1 src1_sel:DWORD
	v_cndmask_b32_e32 v39, v39, v41, vcc
	v_cndmask_b32_e32 v8, v40, v42, vcc
	v_add_co_u32_e32 v40, vcc, 1, v39
	v_addc_co_u32_e32 v41, vcc, 0, v8, vcc
	v_cmp_neq_f16_e32 vcc, 0, v9
	v_cndmask_b32_e32 v39, v39, v40, vcc
	v_cndmask_b32_e32 v8, v8, v41, vcc
	v_add_co_u32_e32 v40, vcc, 1, v39
	v_addc_co_u32_e32 v41, vcc, 0, v8, vcc
	v_cmp_neq_f16_sdwa vcc, v9, v19 src0_sel:WORD_1 src1_sel:DWORD
	v_cndmask_b32_e32 v9, v8, v41, vcc
	v_cndmask_b32_e32 v8, v39, v40, vcc
	s_cbranch_execz .LBB26_11
	s_branch .LBB26_12
.LBB26_10:                              ;   in Loop: Header=BB26_4 Depth=1
                                        ; implicit-def: $vgpr8_vgpr9_vgpr10_vgpr11_vgpr12_vgpr13_vgpr14_vgpr15
.LBB26_11:                              ;   in Loop: Header=BB26_4 Depth=1
	v_mov_b32_e32 v10, s17
	v_add_co_u32_e32 v8, vcc, s16, v36
	v_addc_co_u32_e32 v9, vcc, v10, v35, vcc
	global_load_ushort v11, v[8:9], off
	v_add_co_u32_e32 v8, vcc, s16, v34
	v_addc_co_u32_e32 v9, vcc, v10, v33, vcc
	global_load_ushort v12, v[8:9], off
	v_add_co_u32_e32 v8, vcc, s16, v32
	v_addc_co_u32_e32 v9, vcc, v10, v31, vcc
	global_load_ushort v13, v[8:9], off
	v_add_co_u32_e32 v8, vcc, s16, v30
	v_addc_co_u32_e32 v9, vcc, v10, v29, vcc
	global_load_ushort v8, v[8:9], off
	v_add_co_u32_e32 v9, vcc, 1, v0
	v_addc_co_u32_e32 v10, vcc, 0, v1, vcc
	s_waitcnt vmcnt(3)
	v_cmp_neq_f16_e32 vcc, 0, v11
	v_cndmask_b32_e32 v0, v0, v9, vcc
	v_cndmask_b32_e32 v1, v1, v10, vcc
	v_add_co_u32_e32 v9, vcc, 1, v0
	v_addc_co_u32_e32 v10, vcc, 0, v1, vcc
	s_waitcnt vmcnt(2)
	v_cmp_neq_f16_e32 vcc, 0, v12
	v_cndmask_b32_e32 v0, v0, v9, vcc
	v_cndmask_b32_e32 v1, v1, v10, vcc
	;; [unrolled: 6-line block ×4, first 2 shown]
	v_pk_mov_b32 v[14:15], v[6:7], v[6:7] op_sel:[0,1]
	v_pk_mov_b32 v[12:13], v[4:5], v[4:5] op_sel:[0,1]
	;; [unrolled: 1-line block ×4, first 2 shown]
.LBB26_12:                              ;   in Loop: Header=BB26_4 Depth=1
	v_pk_mov_b32 v[0:1], v[8:9], v[8:9] op_sel:[0,1]
	v_pk_mov_b32 v[2:3], v[10:11], v[10:11] op_sel:[0,1]
	;; [unrolled: 1-line block ×4, first 2 shown]
	s_or_b64 exec, exec, s[20:21]
	s_and_saveexec_b64 s[20:21], s[2:3]
	s_cbranch_execz .LBB26_6
.LBB26_13:                              ;   in Loop: Header=BB26_4 Depth=1
	s_and_b64 vcc, exec, s[8:9]
	s_cbranch_vccnz .LBB26_15
; %bb.14:                               ;   in Loop: Header=BB26_4 Depth=1
	v_mov_b32_e32 v9, s17
	v_add_co_u32_e32 v8, vcc, s16, v24
	v_addc_co_u32_e32 v9, vcc, v9, v23, vcc
	global_load_dwordx2 v[10:11], v[8:9], off
	v_add_co_u32_e32 v39, vcc, 1, v2
	v_addc_co_u32_e32 v40, vcc, 0, v3, vcc
	v_mov_b32_e32 v8, v0
	v_mov_b32_e32 v9, v1
	;; [unrolled: 1-line block ×6, first 2 shown]
	s_waitcnt vmcnt(0)
	v_cmp_neq_f16_e32 vcc, 0, v10
	v_cndmask_b32_e32 v39, v2, v39, vcc
	v_cndmask_b32_e32 v40, v3, v40, vcc
	v_add_co_u32_e32 v41, vcc, 1, v39
	v_addc_co_u32_e32 v42, vcc, 0, v40, vcc
	v_cmp_neq_f16_sdwa vcc, v10, v19 src0_sel:WORD_1 src1_sel:DWORD
	v_cndmask_b32_e32 v39, v39, v41, vcc
	v_cndmask_b32_e32 v10, v40, v42, vcc
	v_add_co_u32_e32 v40, vcc, 1, v39
	v_addc_co_u32_e32 v41, vcc, 0, v10, vcc
	v_cmp_neq_f16_e32 vcc, 0, v11
	v_cndmask_b32_e32 v39, v39, v40, vcc
	v_cndmask_b32_e32 v10, v10, v41, vcc
	v_add_co_u32_e32 v40, vcc, 1, v39
	v_addc_co_u32_e32 v41, vcc, 0, v10, vcc
	v_cmp_neq_f16_sdwa vcc, v11, v19 src0_sel:WORD_1 src1_sel:DWORD
	v_cndmask_b32_e32 v11, v10, v41, vcc
	v_cndmask_b32_e32 v10, v39, v40, vcc
	s_cbranch_execz .LBB26_16
	s_branch .LBB26_17
.LBB26_15:                              ;   in Loop: Header=BB26_4 Depth=1
                                        ; implicit-def: $vgpr8_vgpr9_vgpr10_vgpr11_vgpr12_vgpr13_vgpr14_vgpr15
.LBB26_16:                              ;   in Loop: Header=BB26_4 Depth=1
	v_mov_b32_e32 v10, s17
	v_add_co_u32_e32 v8, vcc, s16, v36
	v_addc_co_u32_e32 v9, vcc, v10, v35, vcc
	global_load_ushort v11, v[8:9], off offset:128
	v_add_co_u32_e32 v8, vcc, s16, v34
	v_addc_co_u32_e32 v9, vcc, v10, v33, vcc
	global_load_ushort v12, v[8:9], off offset:128
	;; [unrolled: 3-line block ×4, first 2 shown]
	v_add_co_u32_e32 v9, vcc, 1, v2
	v_addc_co_u32_e32 v10, vcc, 0, v3, vcc
	s_waitcnt vmcnt(3)
	v_cmp_neq_f16_e32 vcc, 0, v11
	v_cndmask_b32_e32 v2, v2, v9, vcc
	v_cndmask_b32_e32 v3, v3, v10, vcc
	v_add_co_u32_e32 v9, vcc, 1, v2
	v_addc_co_u32_e32 v10, vcc, 0, v3, vcc
	s_waitcnt vmcnt(2)
	v_cmp_neq_f16_e32 vcc, 0, v12
	v_cndmask_b32_e32 v2, v2, v9, vcc
	v_cndmask_b32_e32 v3, v3, v10, vcc
	;; [unrolled: 6-line block ×4, first 2 shown]
	v_pk_mov_b32 v[14:15], v[6:7], v[6:7] op_sel:[0,1]
	v_pk_mov_b32 v[12:13], v[4:5], v[4:5] op_sel:[0,1]
	;; [unrolled: 1-line block ×4, first 2 shown]
.LBB26_17:                              ;   in Loop: Header=BB26_4 Depth=1
	v_pk_mov_b32 v[0:1], v[8:9], v[8:9] op_sel:[0,1]
	v_pk_mov_b32 v[2:3], v[10:11], v[10:11] op_sel:[0,1]
	;; [unrolled: 1-line block ×4, first 2 shown]
	s_or_b64 exec, exec, s[20:21]
	s_and_saveexec_b64 s[20:21], s[4:5]
	s_cbranch_execz .LBB26_7
.LBB26_18:                              ;   in Loop: Header=BB26_4 Depth=1
	s_and_b64 vcc, exec, s[8:9]
	s_cbranch_vccnz .LBB26_20
; %bb.19:                               ;   in Loop: Header=BB26_4 Depth=1
	v_mov_b32_e32 v9, s17
	v_add_co_u32_e32 v8, vcc, s16, v26
	v_addc_co_u32_e32 v9, vcc, v9, v25, vcc
	global_load_dwordx2 v[12:13], v[8:9], off
	v_add_co_u32_e32 v39, vcc, 1, v4
	v_addc_co_u32_e32 v40, vcc, 0, v5, vcc
	v_mov_b32_e32 v8, v0
	v_mov_b32_e32 v9, v1
	;; [unrolled: 1-line block ×6, first 2 shown]
	s_waitcnt vmcnt(0)
	v_cmp_neq_f16_e32 vcc, 0, v12
	v_cndmask_b32_e32 v39, v4, v39, vcc
	v_cndmask_b32_e32 v40, v5, v40, vcc
	v_add_co_u32_e32 v41, vcc, 1, v39
	v_addc_co_u32_e32 v42, vcc, 0, v40, vcc
	v_cmp_neq_f16_sdwa vcc, v12, v19 src0_sel:WORD_1 src1_sel:DWORD
	v_cndmask_b32_e32 v39, v39, v41, vcc
	v_cndmask_b32_e32 v12, v40, v42, vcc
	v_add_co_u32_e32 v40, vcc, 1, v39
	v_addc_co_u32_e32 v41, vcc, 0, v12, vcc
	v_cmp_neq_f16_e32 vcc, 0, v13
	v_cndmask_b32_e32 v39, v39, v40, vcc
	v_cndmask_b32_e32 v12, v12, v41, vcc
	v_add_co_u32_e32 v40, vcc, 1, v39
	v_addc_co_u32_e32 v41, vcc, 0, v12, vcc
	v_cmp_neq_f16_sdwa vcc, v13, v19 src0_sel:WORD_1 src1_sel:DWORD
	v_cndmask_b32_e32 v13, v12, v41, vcc
	v_cndmask_b32_e32 v12, v39, v40, vcc
	s_cbranch_execz .LBB26_21
	s_branch .LBB26_22
.LBB26_20:                              ;   in Loop: Header=BB26_4 Depth=1
                                        ; implicit-def: $vgpr8_vgpr9_vgpr10_vgpr11_vgpr12_vgpr13_vgpr14_vgpr15
.LBB26_21:                              ;   in Loop: Header=BB26_4 Depth=1
	v_mov_b32_e32 v10, s17
	v_add_co_u32_e32 v8, vcc, s16, v36
	v_addc_co_u32_e32 v9, vcc, v10, v35, vcc
	global_load_ushort v11, v[8:9], off offset:256
	v_add_co_u32_e32 v8, vcc, s16, v34
	v_addc_co_u32_e32 v9, vcc, v10, v33, vcc
	global_load_ushort v12, v[8:9], off offset:256
	v_add_co_u32_e32 v8, vcc, s16, v32
	v_addc_co_u32_e32 v9, vcc, v10, v31, vcc
	global_load_ushort v13, v[8:9], off offset:256
	v_add_co_u32_e32 v8, vcc, s16, v30
	v_addc_co_u32_e32 v9, vcc, v10, v29, vcc
	global_load_ushort v8, v[8:9], off offset:256
	v_add_co_u32_e32 v9, vcc, 1, v4
	v_addc_co_u32_e32 v10, vcc, 0, v5, vcc
	s_waitcnt vmcnt(3)
	v_cmp_neq_f16_e32 vcc, 0, v11
	v_cndmask_b32_e32 v4, v4, v9, vcc
	v_cndmask_b32_e32 v5, v5, v10, vcc
	v_add_co_u32_e32 v9, vcc, 1, v4
	v_addc_co_u32_e32 v10, vcc, 0, v5, vcc
	s_waitcnt vmcnt(2)
	v_cmp_neq_f16_e32 vcc, 0, v12
	v_cndmask_b32_e32 v4, v4, v9, vcc
	v_cndmask_b32_e32 v5, v5, v10, vcc
	;; [unrolled: 6-line block ×4, first 2 shown]
	v_pk_mov_b32 v[14:15], v[6:7], v[6:7] op_sel:[0,1]
	v_pk_mov_b32 v[12:13], v[4:5], v[4:5] op_sel:[0,1]
	;; [unrolled: 1-line block ×4, first 2 shown]
.LBB26_22:                              ;   in Loop: Header=BB26_4 Depth=1
	v_pk_mov_b32 v[0:1], v[8:9], v[8:9] op_sel:[0,1]
	v_pk_mov_b32 v[2:3], v[10:11], v[10:11] op_sel:[0,1]
	;; [unrolled: 1-line block ×4, first 2 shown]
	s_or_b64 exec, exec, s[20:21]
	s_and_saveexec_b64 s[20:21], s[6:7]
	s_cbranch_execz .LBB26_3
.LBB26_23:                              ;   in Loop: Header=BB26_4 Depth=1
	s_and_b64 vcc, exec, s[8:9]
	s_cbranch_vccnz .LBB26_25
; %bb.24:                               ;   in Loop: Header=BB26_4 Depth=1
	v_mov_b32_e32 v9, s17
	v_add_co_u32_e32 v8, vcc, s16, v28
	v_addc_co_u32_e32 v9, vcc, v9, v27, vcc
	global_load_dwordx2 v[14:15], v[8:9], off
	v_add_co_u32_e32 v39, vcc, 1, v6
	v_addc_co_u32_e32 v40, vcc, 0, v7, vcc
	v_mov_b32_e32 v8, v0
	v_mov_b32_e32 v9, v1
	;; [unrolled: 1-line block ×6, first 2 shown]
	s_waitcnt vmcnt(0)
	v_cmp_neq_f16_e32 vcc, 0, v14
	v_cndmask_b32_e32 v39, v6, v39, vcc
	v_cndmask_b32_e32 v40, v7, v40, vcc
	v_add_co_u32_e32 v41, vcc, 1, v39
	v_addc_co_u32_e32 v42, vcc, 0, v40, vcc
	v_cmp_neq_f16_sdwa vcc, v14, v19 src0_sel:WORD_1 src1_sel:DWORD
	v_cndmask_b32_e32 v39, v39, v41, vcc
	v_cndmask_b32_e32 v14, v40, v42, vcc
	v_add_co_u32_e32 v40, vcc, 1, v39
	v_addc_co_u32_e32 v41, vcc, 0, v14, vcc
	v_cmp_neq_f16_e32 vcc, 0, v15
	v_cndmask_b32_e32 v39, v39, v40, vcc
	v_cndmask_b32_e32 v14, v14, v41, vcc
	v_add_co_u32_e32 v40, vcc, 1, v39
	v_addc_co_u32_e32 v41, vcc, 0, v14, vcc
	v_cmp_neq_f16_sdwa vcc, v15, v19 src0_sel:WORD_1 src1_sel:DWORD
	v_cndmask_b32_e32 v15, v14, v41, vcc
	v_cndmask_b32_e32 v14, v39, v40, vcc
	s_cbranch_execnz .LBB26_2
	s_branch .LBB26_26
.LBB26_25:                              ;   in Loop: Header=BB26_4 Depth=1
                                        ; implicit-def: $vgpr8_vgpr9_vgpr10_vgpr11_vgpr12_vgpr13_vgpr14_vgpr15
.LBB26_26:                              ;   in Loop: Header=BB26_4 Depth=1
	v_mov_b32_e32 v10, s17
	v_add_co_u32_e32 v8, vcc, s16, v36
	v_addc_co_u32_e32 v9, vcc, v10, v35, vcc
	global_load_ushort v11, v[8:9], off offset:384
	v_add_co_u32_e32 v8, vcc, s16, v34
	v_addc_co_u32_e32 v9, vcc, v10, v33, vcc
	global_load_ushort v12, v[8:9], off offset:384
	;; [unrolled: 3-line block ×4, first 2 shown]
	v_add_co_u32_e32 v9, vcc, 1, v6
	v_addc_co_u32_e32 v10, vcc, 0, v7, vcc
	s_waitcnt vmcnt(3)
	v_cmp_neq_f16_e32 vcc, 0, v11
	v_cndmask_b32_e32 v6, v6, v9, vcc
	v_cndmask_b32_e32 v7, v7, v10, vcc
	v_add_co_u32_e32 v9, vcc, 1, v6
	v_addc_co_u32_e32 v10, vcc, 0, v7, vcc
	s_waitcnt vmcnt(2)
	v_cmp_neq_f16_e32 vcc, 0, v12
	v_cndmask_b32_e32 v6, v6, v9, vcc
	v_cndmask_b32_e32 v7, v7, v10, vcc
	;; [unrolled: 6-line block ×4, first 2 shown]
	v_pk_mov_b32 v[14:15], v[6:7], v[6:7] op_sel:[0,1]
	v_pk_mov_b32 v[12:13], v[4:5], v[4:5] op_sel:[0,1]
	v_pk_mov_b32 v[10:11], v[2:3], v[2:3] op_sel:[0,1]
	v_pk_mov_b32 v[8:9], v[0:1], v[0:1] op_sel:[0,1]
	s_branch .LBB26_2
.LBB26_27:
	s_or_b64 exec, exec, s[40:41]
.LBB26_28:
	s_or_b64 exec, exec, s[34:35]
	v_cmp_lt_i64_e64 s[0:1], s[28:29], 1
	s_and_b64 vcc, exec, s[0:1]
	s_cbranch_vccnz .LBB26_126
; %bb.29:
	v_lshlrev_b64 v[8:9], 1, v[16:17]
	v_mov_b32_e32 v10, s17
	v_add_co_u32_e32 v22, vcc, s16, v8
	s_cmp_eq_u32 s42, 1
	v_addc_co_u32_e32 v23, vcc, v10, v9, vcc
	s_cselect_b64 s[2:3], -1, 0
	s_cmp_lg_u32 s42, 1
	s_cselect_b64 s[0:1], -1, 0
	v_cmp_gt_i64_e32 vcc, s[12:13], v[18:19]
	v_lshlrev_b64 v[8:9], 1, v[18:19]
	s_and_saveexec_b64 s[4:5], vcc
	s_cbranch_execz .LBB26_53
; %bb.30:
	v_mad_u64_u32 v[10:11], s[6:7], v18, s18, 0
	v_mov_b32_e32 v12, v11
	v_mad_u64_u32 v[12:13], s[6:7], v18, s19, v[12:13]
	v_mov_b32_e32 v11, v12
	v_lshlrev_b64 v[10:11], 1, v[10:11]
	v_add_co_u32_e32 v10, vcc, v22, v10
	v_addc_co_u32_e32 v11, vcc, v23, v11, vcc
	v_mov_b32_e32 v12, s17
	v_add_co_u32_e32 v21, vcc, s16, v8
	v_addc_co_u32_e32 v24, vcc, v12, v9, vcc
	v_cmp_gt_i64_e32 vcc, s[14:15], v[16:17]
	s_and_saveexec_b64 s[6:7], vcc
	s_cbranch_execz .LBB26_34
; %bb.31:
	s_andn2_b64 vcc, exec, s[2:3]
	v_pk_mov_b32 v[12:13], v[10:11], v[10:11] op_sel:[0,1]
	s_cbranch_vccnz .LBB26_33
; %bb.32:
	v_mul_lo_u32 v14, v17, s18
	v_mul_lo_u32 v15, v16, s19
	v_mad_u64_u32 v[12:13], s[8:9], v16, s18, 0
	v_add3_u32 v13, v13, v15, v14
	v_lshlrev_b64 v[12:13], 1, v[12:13]
	v_add_co_u32_e32 v12, vcc, v21, v12
	v_addc_co_u32_e32 v13, vcc, v24, v13, vcc
.LBB26_33:
	global_load_ushort v12, v[12:13], off
	s_waitcnt vmcnt(0)
	v_cmp_neq_f16_e32 vcc, 0, v12
	v_cndmask_b32_e64 v12, 0, 1, vcc
	v_add_co_u32_e32 v0, vcc, v0, v12
	v_addc_co_u32_e32 v1, vcc, 0, v1, vcc
.LBB26_34:
	s_or_b64 exec, exec, s[6:7]
	v_or_b32_e32 v12, 1, v16
	v_mov_b32_e32 v13, v17
	v_cmp_gt_i64_e32 vcc, s[14:15], v[12:13]
	s_and_saveexec_b64 s[6:7], vcc
	s_cbranch_execz .LBB26_40
; %bb.35:
	s_andn2_b64 vcc, exec, s[0:1]
	s_cbranch_vccnz .LBB26_37
; %bb.36:
	v_add_co_u32_e32 v14, vcc, 2, v10
	v_addc_co_u32_e32 v15, vcc, 0, v11, vcc
	s_cbranch_execz .LBB26_38
	s_branch .LBB26_39
.LBB26_37:
                                        ; implicit-def: $vgpr14_vgpr15
.LBB26_38:
	v_mul_lo_u32 v14, v13, s18
	v_mul_lo_u32 v15, v12, s19
	v_mad_u64_u32 v[12:13], s[8:9], v12, s18, 0
	v_add3_u32 v13, v13, v15, v14
	v_lshlrev_b64 v[12:13], 1, v[12:13]
	v_add_co_u32_e32 v14, vcc, v21, v12
	v_addc_co_u32_e32 v15, vcc, v24, v13, vcc
.LBB26_39:
	global_load_ushort v12, v[14:15], off
	s_waitcnt vmcnt(0)
	v_cmp_neq_f16_e32 vcc, 0, v12
	v_cndmask_b32_e64 v12, 0, 1, vcc
	v_add_co_u32_e32 v0, vcc, v0, v12
	v_addc_co_u32_e32 v1, vcc, 0, v1, vcc
.LBB26_40:
	s_or_b64 exec, exec, s[6:7]
	v_or_b32_e32 v12, 2, v16
	v_mov_b32_e32 v13, v17
	v_cmp_gt_i64_e32 vcc, s[14:15], v[12:13]
	s_and_saveexec_b64 s[6:7], vcc
	s_cbranch_execz .LBB26_46
; %bb.41:
	s_andn2_b64 vcc, exec, s[0:1]
	s_cbranch_vccnz .LBB26_43
; %bb.42:
	v_add_co_u32_e32 v14, vcc, 4, v10
	v_addc_co_u32_e32 v15, vcc, 0, v11, vcc
	s_cbranch_execz .LBB26_44
	s_branch .LBB26_45
.LBB26_43:
                                        ; implicit-def: $vgpr14_vgpr15
.LBB26_44:
	v_mul_lo_u32 v14, v13, s18
	v_mul_lo_u32 v15, v12, s19
	v_mad_u64_u32 v[12:13], s[8:9], v12, s18, 0
	v_add3_u32 v13, v13, v15, v14
	v_lshlrev_b64 v[12:13], 1, v[12:13]
	v_add_co_u32_e32 v14, vcc, v21, v12
	v_addc_co_u32_e32 v15, vcc, v24, v13, vcc
.LBB26_45:
	global_load_ushort v12, v[14:15], off
	s_waitcnt vmcnt(0)
	v_cmp_neq_f16_e32 vcc, 0, v12
	v_cndmask_b32_e64 v12, 0, 1, vcc
	v_add_co_u32_e32 v0, vcc, v0, v12
	v_addc_co_u32_e32 v1, vcc, 0, v1, vcc
.LBB26_46:
	s_or_b64 exec, exec, s[6:7]
	v_or_b32_e32 v12, 3, v16
	v_mov_b32_e32 v13, v17
	v_cmp_gt_i64_e32 vcc, s[14:15], v[12:13]
	s_and_saveexec_b64 s[6:7], vcc
	s_cbranch_execz .LBB26_52
; %bb.47:
	s_andn2_b64 vcc, exec, s[0:1]
	s_cbranch_vccnz .LBB26_49
; %bb.48:
	v_add_co_u32_e32 v10, vcc, 6, v10
	v_addc_co_u32_e32 v11, vcc, 0, v11, vcc
	s_cbranch_execz .LBB26_50
	s_branch .LBB26_51
.LBB26_49:
                                        ; implicit-def: $vgpr10_vgpr11
.LBB26_50:
	v_mul_lo_u32 v13, v13, s18
	v_mul_lo_u32 v14, v12, s19
	v_mad_u64_u32 v[10:11], s[8:9], v12, s18, 0
	v_add3_u32 v11, v11, v14, v13
	v_lshlrev_b64 v[10:11], 1, v[10:11]
	v_add_co_u32_e32 v10, vcc, v21, v10
	v_addc_co_u32_e32 v11, vcc, v24, v11, vcc
.LBB26_51:
	global_load_ushort v10, v[10:11], off
	s_waitcnt vmcnt(0)
	v_cmp_neq_f16_e32 vcc, 0, v10
	v_cndmask_b32_e64 v10, 0, 1, vcc
	v_add_co_u32_e32 v0, vcc, v0, v10
	v_addc_co_u32_e32 v1, vcc, 0, v1, vcc
.LBB26_52:
	s_or_b64 exec, exec, s[6:7]
.LBB26_53:
	s_or_b64 exec, exec, s[4:5]
	v_mov_b32_e32 v21, v19
	v_cmp_gt_i64_e32 vcc, s[12:13], v[20:21]
	s_and_saveexec_b64 s[4:5], vcc
	s_cbranch_execz .LBB26_77
; %bb.54:
	v_mad_u64_u32 v[10:11], s[6:7], v20, s18, 0
	v_mov_b32_e32 v12, v11
	v_mad_u64_u32 v[12:13], s[6:7], v20, s19, v[12:13]
	v_mov_b32_e32 v11, v12
	v_lshlrev_b64 v[10:11], 1, v[10:11]
	v_add_co_u32_e32 v10, vcc, v22, v10
	v_addc_co_u32_e32 v11, vcc, v23, v11, vcc
	v_mov_b32_e32 v12, s17
	v_add_co_u32_e32 v20, vcc, s16, v8
	v_addc_co_u32_e32 v21, vcc, v12, v9, vcc
	v_cmp_gt_i64_e32 vcc, s[14:15], v[16:17]
	s_and_saveexec_b64 s[6:7], vcc
	s_cbranch_execz .LBB26_58
; %bb.55:
	s_andn2_b64 vcc, exec, s[2:3]
	v_pk_mov_b32 v[12:13], v[10:11], v[10:11] op_sel:[0,1]
	s_cbranch_vccnz .LBB26_57
; %bb.56:
	v_mul_lo_u32 v14, v17, s18
	v_mul_lo_u32 v15, v16, s19
	v_mad_u64_u32 v[12:13], s[8:9], v16, s18, 0
	v_add3_u32 v13, v13, v15, v14
	v_lshlrev_b64 v[12:13], 1, v[12:13]
	v_add_co_u32_e32 v12, vcc, v20, v12
	v_addc_co_u32_e32 v13, vcc, v21, v13, vcc
	v_add_co_u32_e32 v12, vcc, 0x80, v12
	v_addc_co_u32_e32 v13, vcc, 0, v13, vcc
.LBB26_57:
	global_load_ushort v12, v[12:13], off
	s_waitcnt vmcnt(0)
	v_cmp_neq_f16_e32 vcc, 0, v12
	v_cndmask_b32_e64 v12, 0, 1, vcc
	v_add_co_u32_e32 v2, vcc, v2, v12
	v_addc_co_u32_e32 v3, vcc, 0, v3, vcc
.LBB26_58:
	s_or_b64 exec, exec, s[6:7]
	v_or_b32_e32 v12, 1, v16
	v_mov_b32_e32 v13, v17
	v_cmp_gt_i64_e32 vcc, s[14:15], v[12:13]
	s_and_saveexec_b64 s[6:7], vcc
	s_cbranch_execz .LBB26_64
; %bb.59:
	s_andn2_b64 vcc, exec, s[0:1]
	s_cbranch_vccnz .LBB26_61
; %bb.60:
	v_add_co_u32_e32 v14, vcc, 2, v10
	v_addc_co_u32_e32 v15, vcc, 0, v11, vcc
	s_cbranch_execz .LBB26_62
	s_branch .LBB26_63
.LBB26_61:
                                        ; implicit-def: $vgpr14_vgpr15
.LBB26_62:
	v_mul_lo_u32 v14, v13, s18
	v_mul_lo_u32 v15, v12, s19
	v_mad_u64_u32 v[12:13], s[8:9], v12, s18, 0
	v_add3_u32 v13, v13, v15, v14
	v_lshlrev_b64 v[12:13], 1, v[12:13]
	v_add_co_u32_e32 v12, vcc, v20, v12
	v_addc_co_u32_e32 v13, vcc, v21, v13, vcc
	v_add_co_u32_e32 v14, vcc, 0x80, v12
	v_addc_co_u32_e32 v15, vcc, 0, v13, vcc
.LBB26_63:
	global_load_ushort v12, v[14:15], off
	s_waitcnt vmcnt(0)
	v_cmp_neq_f16_e32 vcc, 0, v12
	v_cndmask_b32_e64 v12, 0, 1, vcc
	v_add_co_u32_e32 v2, vcc, v2, v12
	v_addc_co_u32_e32 v3, vcc, 0, v3, vcc
.LBB26_64:
	s_or_b64 exec, exec, s[6:7]
	v_or_b32_e32 v12, 2, v16
	v_mov_b32_e32 v13, v17
	v_cmp_gt_i64_e32 vcc, s[14:15], v[12:13]
	s_and_saveexec_b64 s[6:7], vcc
	s_cbranch_execz .LBB26_70
; %bb.65:
	s_andn2_b64 vcc, exec, s[0:1]
	s_cbranch_vccnz .LBB26_67
; %bb.66:
	v_add_co_u32_e32 v14, vcc, 4, v10
	v_addc_co_u32_e32 v15, vcc, 0, v11, vcc
	s_cbranch_execz .LBB26_68
	s_branch .LBB26_69
.LBB26_67:
                                        ; implicit-def: $vgpr14_vgpr15
.LBB26_68:
	v_mul_lo_u32 v14, v13, s18
	v_mul_lo_u32 v15, v12, s19
	v_mad_u64_u32 v[12:13], s[8:9], v12, s18, 0
	v_add3_u32 v13, v13, v15, v14
	v_lshlrev_b64 v[12:13], 1, v[12:13]
	v_add_co_u32_e32 v12, vcc, v20, v12
	v_addc_co_u32_e32 v13, vcc, v21, v13, vcc
	v_add_co_u32_e32 v14, vcc, 0x80, v12
	v_addc_co_u32_e32 v15, vcc, 0, v13, vcc
.LBB26_69:
	global_load_ushort v12, v[14:15], off
	s_waitcnt vmcnt(0)
	v_cmp_neq_f16_e32 vcc, 0, v12
	v_cndmask_b32_e64 v12, 0, 1, vcc
	v_add_co_u32_e32 v2, vcc, v2, v12
	v_addc_co_u32_e32 v3, vcc, 0, v3, vcc
.LBB26_70:
	s_or_b64 exec, exec, s[6:7]
	v_or_b32_e32 v12, 3, v16
	v_mov_b32_e32 v13, v17
	v_cmp_gt_i64_e32 vcc, s[14:15], v[12:13]
	s_and_saveexec_b64 s[6:7], vcc
	s_cbranch_execz .LBB26_76
; %bb.71:
	s_andn2_b64 vcc, exec, s[0:1]
	s_cbranch_vccnz .LBB26_73
; %bb.72:
	v_add_co_u32_e32 v10, vcc, 6, v10
	v_addc_co_u32_e32 v11, vcc, 0, v11, vcc
	s_cbranch_execz .LBB26_74
	s_branch .LBB26_75
.LBB26_73:
                                        ; implicit-def: $vgpr10_vgpr11
.LBB26_74:
	v_mul_lo_u32 v13, v13, s18
	v_mul_lo_u32 v14, v12, s19
	v_mad_u64_u32 v[10:11], s[8:9], v12, s18, 0
	v_add3_u32 v11, v11, v14, v13
	v_lshlrev_b64 v[10:11], 1, v[10:11]
	v_add_co_u32_e32 v10, vcc, v20, v10
	v_addc_co_u32_e32 v11, vcc, v21, v11, vcc
	v_add_co_u32_e32 v10, vcc, 0x80, v10
	v_addc_co_u32_e32 v11, vcc, 0, v11, vcc
.LBB26_75:
	global_load_ushort v10, v[10:11], off
	s_waitcnt vmcnt(0)
	v_cmp_neq_f16_e32 vcc, 0, v10
	v_cndmask_b32_e64 v10, 0, 1, vcc
	v_add_co_u32_e32 v2, vcc, v2, v10
	v_addc_co_u32_e32 v3, vcc, 0, v3, vcc
.LBB26_76:
	s_or_b64 exec, exec, s[6:7]
.LBB26_77:
	s_or_b64 exec, exec, s[4:5]
	v_or_b32_e32 v10, 0x80, v18
	v_mov_b32_e32 v11, v19
	v_cmp_gt_i64_e32 vcc, s[12:13], v[10:11]
	s_and_saveexec_b64 s[4:5], vcc
	s_cbranch_execz .LBB26_101
; %bb.78:
	v_mad_u64_u32 v[12:13], s[6:7], v10, s18, 0
	v_mov_b32_e32 v14, v13
	v_mad_u64_u32 v[10:11], s[6:7], v10, s19, v[14:15]
	v_mov_b32_e32 v13, v10
	v_lshlrev_b64 v[10:11], 1, v[12:13]
	v_add_co_u32_e32 v10, vcc, v22, v10
	v_addc_co_u32_e32 v11, vcc, v23, v11, vcc
	v_mov_b32_e32 v12, s17
	v_add_co_u32_e32 v20, vcc, s16, v8
	v_addc_co_u32_e32 v21, vcc, v12, v9, vcc
	v_cmp_gt_i64_e32 vcc, s[14:15], v[16:17]
	s_and_saveexec_b64 s[6:7], vcc
	s_cbranch_execz .LBB26_82
; %bb.79:
	s_andn2_b64 vcc, exec, s[2:3]
	v_pk_mov_b32 v[12:13], v[10:11], v[10:11] op_sel:[0,1]
	s_cbranch_vccnz .LBB26_81
; %bb.80:
	v_mul_lo_u32 v14, v17, s18
	v_mul_lo_u32 v15, v16, s19
	v_mad_u64_u32 v[12:13], s[8:9], v16, s18, 0
	v_add3_u32 v13, v13, v15, v14
	v_lshlrev_b64 v[12:13], 1, v[12:13]
	v_add_co_u32_e32 v12, vcc, v20, v12
	v_addc_co_u32_e32 v13, vcc, v21, v13, vcc
	v_add_co_u32_e32 v12, vcc, 0x100, v12
	v_addc_co_u32_e32 v13, vcc, 0, v13, vcc
.LBB26_81:
	global_load_ushort v12, v[12:13], off
	s_waitcnt vmcnt(0)
	v_cmp_neq_f16_e32 vcc, 0, v12
	v_cndmask_b32_e64 v12, 0, 1, vcc
	v_add_co_u32_e32 v4, vcc, v4, v12
	v_addc_co_u32_e32 v5, vcc, 0, v5, vcc
.LBB26_82:
	s_or_b64 exec, exec, s[6:7]
	v_or_b32_e32 v12, 1, v16
	v_mov_b32_e32 v13, v17
	v_cmp_gt_i64_e32 vcc, s[14:15], v[12:13]
	s_and_saveexec_b64 s[6:7], vcc
	s_cbranch_execz .LBB26_88
; %bb.83:
	s_andn2_b64 vcc, exec, s[0:1]
	s_cbranch_vccnz .LBB26_85
; %bb.84:
	v_add_co_u32_e32 v14, vcc, 2, v10
	v_addc_co_u32_e32 v15, vcc, 0, v11, vcc
	s_cbranch_execz .LBB26_86
	s_branch .LBB26_87
.LBB26_85:
                                        ; implicit-def: $vgpr14_vgpr15
.LBB26_86:
	v_mul_lo_u32 v14, v13, s18
	v_mul_lo_u32 v15, v12, s19
	v_mad_u64_u32 v[12:13], s[8:9], v12, s18, 0
	v_add3_u32 v13, v13, v15, v14
	v_lshlrev_b64 v[12:13], 1, v[12:13]
	v_add_co_u32_e32 v12, vcc, v20, v12
	v_addc_co_u32_e32 v13, vcc, v21, v13, vcc
	v_add_co_u32_e32 v14, vcc, 0x100, v12
	v_addc_co_u32_e32 v15, vcc, 0, v13, vcc
.LBB26_87:
	global_load_ushort v12, v[14:15], off
	s_waitcnt vmcnt(0)
	v_cmp_neq_f16_e32 vcc, 0, v12
	v_cndmask_b32_e64 v12, 0, 1, vcc
	v_add_co_u32_e32 v4, vcc, v4, v12
	v_addc_co_u32_e32 v5, vcc, 0, v5, vcc
.LBB26_88:
	s_or_b64 exec, exec, s[6:7]
	v_or_b32_e32 v12, 2, v16
	v_mov_b32_e32 v13, v17
	v_cmp_gt_i64_e32 vcc, s[14:15], v[12:13]
	s_and_saveexec_b64 s[6:7], vcc
	s_cbranch_execz .LBB26_94
; %bb.89:
	s_andn2_b64 vcc, exec, s[0:1]
	s_cbranch_vccnz .LBB26_91
; %bb.90:
	v_add_co_u32_e32 v14, vcc, 4, v10
	v_addc_co_u32_e32 v15, vcc, 0, v11, vcc
	s_cbranch_execz .LBB26_92
	s_branch .LBB26_93
.LBB26_91:
                                        ; implicit-def: $vgpr14_vgpr15
.LBB26_92:
	v_mul_lo_u32 v14, v13, s18
	v_mul_lo_u32 v15, v12, s19
	v_mad_u64_u32 v[12:13], s[8:9], v12, s18, 0
	v_add3_u32 v13, v13, v15, v14
	v_lshlrev_b64 v[12:13], 1, v[12:13]
	v_add_co_u32_e32 v12, vcc, v20, v12
	v_addc_co_u32_e32 v13, vcc, v21, v13, vcc
	v_add_co_u32_e32 v14, vcc, 0x100, v12
	v_addc_co_u32_e32 v15, vcc, 0, v13, vcc
.LBB26_93:
	global_load_ushort v12, v[14:15], off
	s_waitcnt vmcnt(0)
	v_cmp_neq_f16_e32 vcc, 0, v12
	v_cndmask_b32_e64 v12, 0, 1, vcc
	v_add_co_u32_e32 v4, vcc, v4, v12
	v_addc_co_u32_e32 v5, vcc, 0, v5, vcc
.LBB26_94:
	s_or_b64 exec, exec, s[6:7]
	v_or_b32_e32 v12, 3, v16
	v_mov_b32_e32 v13, v17
	v_cmp_gt_i64_e32 vcc, s[14:15], v[12:13]
	s_and_saveexec_b64 s[6:7], vcc
	s_cbranch_execz .LBB26_100
; %bb.95:
	s_andn2_b64 vcc, exec, s[0:1]
	s_cbranch_vccnz .LBB26_97
; %bb.96:
	v_add_co_u32_e32 v10, vcc, 6, v10
	v_addc_co_u32_e32 v11, vcc, 0, v11, vcc
	s_cbranch_execz .LBB26_98
	s_branch .LBB26_99
.LBB26_97:
                                        ; implicit-def: $vgpr10_vgpr11
.LBB26_98:
	v_mul_lo_u32 v13, v13, s18
	v_mul_lo_u32 v14, v12, s19
	v_mad_u64_u32 v[10:11], s[8:9], v12, s18, 0
	v_add3_u32 v11, v11, v14, v13
	v_lshlrev_b64 v[10:11], 1, v[10:11]
	v_add_co_u32_e32 v10, vcc, v20, v10
	v_addc_co_u32_e32 v11, vcc, v21, v11, vcc
	v_add_co_u32_e32 v10, vcc, 0x100, v10
	v_addc_co_u32_e32 v11, vcc, 0, v11, vcc
.LBB26_99:
	global_load_ushort v10, v[10:11], off
	s_waitcnt vmcnt(0)
	v_cmp_neq_f16_e32 vcc, 0, v10
	v_cndmask_b32_e64 v10, 0, 1, vcc
	v_add_co_u32_e32 v4, vcc, v4, v10
	v_addc_co_u32_e32 v5, vcc, 0, v5, vcc
.LBB26_100:
	s_or_b64 exec, exec, s[6:7]
.LBB26_101:
	s_or_b64 exec, exec, s[4:5]
	v_or_b32_e32 v18, 0xc0, v18
	v_cmp_gt_i64_e32 vcc, s[12:13], v[18:19]
	s_and_saveexec_b64 s[4:5], vcc
	s_cbranch_execz .LBB26_125
; %bb.102:
	v_mad_u64_u32 v[10:11], s[6:7], v18, s18, 0
	v_mov_b32_e32 v12, v11
	v_mad_u64_u32 v[12:13], s[6:7], v18, s19, v[12:13]
	v_mov_b32_e32 v11, v12
	v_lshlrev_b64 v[10:11], 1, v[10:11]
	v_add_co_u32_e32 v10, vcc, v22, v10
	v_addc_co_u32_e32 v11, vcc, v23, v11, vcc
	v_mov_b32_e32 v12, s17
	v_add_co_u32_e32 v14, vcc, s16, v8
	v_addc_co_u32_e32 v15, vcc, v12, v9, vcc
	v_cmp_gt_i64_e32 vcc, s[14:15], v[16:17]
	s_and_saveexec_b64 s[6:7], vcc
	s_cbranch_execz .LBB26_106
; %bb.103:
	s_andn2_b64 vcc, exec, s[2:3]
	v_pk_mov_b32 v[8:9], v[10:11], v[10:11] op_sel:[0,1]
	s_cbranch_vccnz .LBB26_105
; %bb.104:
	v_mul_lo_u32 v12, v17, s18
	v_mul_lo_u32 v13, v16, s19
	v_mad_u64_u32 v[8:9], s[2:3], v16, s18, 0
	v_add3_u32 v9, v9, v13, v12
	v_lshlrev_b64 v[8:9], 1, v[8:9]
	v_add_co_u32_e32 v8, vcc, v14, v8
	v_addc_co_u32_e32 v9, vcc, v15, v9, vcc
	v_add_co_u32_e32 v8, vcc, 0x180, v8
	v_addc_co_u32_e32 v9, vcc, 0, v9, vcc
.LBB26_105:
	global_load_ushort v8, v[8:9], off
	s_waitcnt vmcnt(0)
	v_cmp_neq_f16_e32 vcc, 0, v8
	v_cndmask_b32_e64 v8, 0, 1, vcc
	v_add_co_u32_e32 v6, vcc, v6, v8
	v_addc_co_u32_e32 v7, vcc, 0, v7, vcc
.LBB26_106:
	s_or_b64 exec, exec, s[6:7]
	v_or_b32_e32 v8, 1, v16
	v_mov_b32_e32 v9, v17
	v_cndmask_b32_e64 v12, 0, 1, s[0:1]
	v_cmp_gt_i64_e32 vcc, s[14:15], v[8:9]
	v_cmp_ne_u32_e64 s[0:1], 1, v12
	s_and_saveexec_b64 s[2:3], vcc
	s_cbranch_execz .LBB26_112
; %bb.107:
	s_and_b64 vcc, exec, s[0:1]
	s_cbranch_vccnz .LBB26_109
; %bb.108:
	v_add_co_u32_e32 v12, vcc, 2, v10
	v_addc_co_u32_e32 v13, vcc, 0, v11, vcc
	s_cbranch_execz .LBB26_110
	s_branch .LBB26_111
.LBB26_109:
                                        ; implicit-def: $vgpr12_vgpr13
.LBB26_110:
	v_mul_lo_u32 v12, v9, s18
	v_mul_lo_u32 v13, v8, s19
	v_mad_u64_u32 v[8:9], s[6:7], v8, s18, 0
	v_add3_u32 v9, v9, v13, v12
	v_lshlrev_b64 v[8:9], 1, v[8:9]
	v_add_co_u32_e32 v8, vcc, v14, v8
	v_addc_co_u32_e32 v9, vcc, v15, v9, vcc
	v_add_co_u32_e32 v12, vcc, 0x180, v8
	v_addc_co_u32_e32 v13, vcc, 0, v9, vcc
.LBB26_111:
	global_load_ushort v8, v[12:13], off
	s_waitcnt vmcnt(0)
	v_cmp_neq_f16_e32 vcc, 0, v8
	v_cndmask_b32_e64 v8, 0, 1, vcc
	v_add_co_u32_e32 v6, vcc, v6, v8
	v_addc_co_u32_e32 v7, vcc, 0, v7, vcc
.LBB26_112:
	s_or_b64 exec, exec, s[2:3]
	v_or_b32_e32 v8, 2, v16
	v_mov_b32_e32 v9, v17
	v_cmp_gt_i64_e32 vcc, s[14:15], v[8:9]
	s_and_saveexec_b64 s[2:3], vcc
	s_cbranch_execz .LBB26_118
; %bb.113:
	s_and_b64 vcc, exec, s[0:1]
	s_cbranch_vccnz .LBB26_115
; %bb.114:
	v_add_co_u32_e32 v12, vcc, 4, v10
	v_addc_co_u32_e32 v13, vcc, 0, v11, vcc
	s_cbranch_execz .LBB26_116
	s_branch .LBB26_117
.LBB26_115:
                                        ; implicit-def: $vgpr12_vgpr13
.LBB26_116:
	v_mul_lo_u32 v12, v9, s18
	v_mul_lo_u32 v13, v8, s19
	v_mad_u64_u32 v[8:9], s[6:7], v8, s18, 0
	v_add3_u32 v9, v9, v13, v12
	v_lshlrev_b64 v[8:9], 1, v[8:9]
	v_add_co_u32_e32 v8, vcc, v14, v8
	v_addc_co_u32_e32 v9, vcc, v15, v9, vcc
	v_add_co_u32_e32 v12, vcc, 0x180, v8
	v_addc_co_u32_e32 v13, vcc, 0, v9, vcc
.LBB26_117:
	global_load_ushort v8, v[12:13], off
	s_waitcnt vmcnt(0)
	v_cmp_neq_f16_e32 vcc, 0, v8
	v_cndmask_b32_e64 v8, 0, 1, vcc
	v_add_co_u32_e32 v6, vcc, v6, v8
	v_addc_co_u32_e32 v7, vcc, 0, v7, vcc
.LBB26_118:
	s_or_b64 exec, exec, s[2:3]
	v_or_b32_e32 v16, 3, v16
	v_cmp_gt_i64_e32 vcc, s[14:15], v[16:17]
	s_and_saveexec_b64 s[2:3], vcc
	s_cbranch_execz .LBB26_124
; %bb.119:
	s_and_b64 vcc, exec, s[0:1]
	s_cbranch_vccnz .LBB26_121
; %bb.120:
	v_add_co_u32_e32 v8, vcc, 6, v10
	v_addc_co_u32_e32 v9, vcc, 0, v11, vcc
	s_cbranch_execz .LBB26_122
	s_branch .LBB26_123
.LBB26_121:
                                        ; implicit-def: $vgpr8_vgpr9
.LBB26_122:
	v_mul_lo_u32 v10, v17, s18
	v_mul_lo_u32 v11, v16, s19
	v_mad_u64_u32 v[8:9], s[0:1], v16, s18, 0
	v_add3_u32 v9, v9, v11, v10
	v_lshlrev_b64 v[8:9], 1, v[8:9]
	v_add_co_u32_e32 v8, vcc, v14, v8
	v_addc_co_u32_e32 v9, vcc, v15, v9, vcc
	v_add_co_u32_e32 v8, vcc, 0x180, v8
	v_addc_co_u32_e32 v9, vcc, 0, v9, vcc
.LBB26_123:
	global_load_ushort v8, v[8:9], off
	s_waitcnt vmcnt(0)
	v_cmp_neq_f16_e32 vcc, 0, v8
	v_cndmask_b32_e64 v8, 0, 1, vcc
	v_add_co_u32_e32 v6, vcc, v6, v8
	v_addc_co_u32_e32 v7, vcc, 0, v7, vcc
.LBB26_124:
	s_or_b64 exec, exec, s[2:3]
.LBB26_125:
	s_or_b64 exec, exec, s[4:5]
.LBB26_126:
	v_lshlrev_b32_e32 v8, 2, v37
	s_mov_b32 s0, 0x1fffff00
	v_and_or_b32 v8, v8, s0, v38
	s_movk_i32 s0, 0x100
	v_lshlrev_b32_e32 v8, 3, v8
	v_cmp_gt_u32_e32 vcc, s0, v37
	ds_write2st64_b64 v8, v[0:1], v[2:3] offset1:1
	ds_write2st64_b64 v8, v[4:5], v[6:7] offset0:2 offset1:3
	s_waitcnt lgkmcnt(0)
	s_barrier
	s_and_saveexec_b64 s[0:1], vcc
	s_cbranch_execz .LBB26_129
; %bb.127:
	v_lshlrev_b32_e32 v10, 3, v37
	ds_read2st64_b64 v[2:5], v10 offset1:4
	ds_read2st64_b64 v[6:9], v10 offset0:8 offset1:12
	v_add_co_u32_e32 v0, vcc, s33, v37
	v_addc_co_u32_e64 v1, s[0:1], 0, 0, vcc
	s_waitcnt lgkmcnt(1)
	v_add_co_u32_e32 v2, vcc, v2, v4
	v_addc_co_u32_e32 v3, vcc, v3, v5, vcc
	s_waitcnt lgkmcnt(0)
	v_add_co_u32_e32 v6, vcc, v2, v6
	v_addc_co_u32_e32 v7, vcc, v3, v7, vcc
	ds_read2st64_b64 v[2:5], v10 offset0:16 offset1:20
	v_add_co_u32_e32 v6, vcc, v6, v8
	v_addc_co_u32_e32 v7, vcc, v7, v9, vcc
	s_waitcnt lgkmcnt(0)
	v_add_co_u32_e32 v2, vcc, v6, v2
	v_addc_co_u32_e32 v3, vcc, v7, v3, vcc
	ds_read2st64_b64 v[6:9], v10 offset0:24 offset1:28
	;; [unrolled: 6-line block ×6, first 2 shown]
	v_add_co_u32_e32 v2, vcc, v2, v4
	v_addc_co_u32_e32 v3, vcc, v3, v5, vcc
	s_waitcnt lgkmcnt(0)
	v_add_co_u32_e32 v2, vcc, v2, v6
	v_addc_co_u32_e32 v3, vcc, v3, v7, vcc
	v_add_co_u32_e32 v2, vcc, v2, v8
	v_addc_co_u32_e32 v3, vcc, v3, v9, vcc
	v_cmp_gt_i64_e32 vcc, s[12:13], v[0:1]
	ds_write_b64 v10, v[2:3]
	s_and_b64 exec, exec, vcc
	s_cbranch_execz .LBB26_129
; %bb.128:
	v_lshlrev_b64 v[0:1], 3, v[0:1]
	v_mov_b32_e32 v4, s11
	v_add_co_u32_e32 v0, vcc, s10, v0
	v_addc_co_u32_e32 v1, vcc, v4, v1, vcc
	global_store_dwordx2 v[0:1], v[2:3], off
.LBB26_129:
	s_endpgm
	.section	.rodata,"a",@progbits
	.p2align	6, 0x0
	.amdhsa_kernel _ZN9rocsparseL14nnz_kernel_rowILi64ELi16EllDF16_EEv16rocsparse_order_T2_S2_PKT3_lPT1_
		.amdhsa_group_segment_fixed_size 32768
		.amdhsa_private_segment_fixed_size 0
		.amdhsa_kernarg_size 304
		.amdhsa_user_sgpr_count 6
		.amdhsa_user_sgpr_private_segment_buffer 1
		.amdhsa_user_sgpr_dispatch_ptr 0
		.amdhsa_user_sgpr_queue_ptr 0
		.amdhsa_user_sgpr_kernarg_segment_ptr 1
		.amdhsa_user_sgpr_dispatch_id 0
		.amdhsa_user_sgpr_flat_scratch_init 0
		.amdhsa_user_sgpr_kernarg_preload_length 0
		.amdhsa_user_sgpr_kernarg_preload_offset 0
		.amdhsa_user_sgpr_private_segment_size 0
		.amdhsa_uses_dynamic_stack 0
		.amdhsa_system_sgpr_private_segment_wavefront_offset 0
		.amdhsa_system_sgpr_workgroup_id_x 1
		.amdhsa_system_sgpr_workgroup_id_y 0
		.amdhsa_system_sgpr_workgroup_id_z 0
		.amdhsa_system_sgpr_workgroup_info 0
		.amdhsa_system_vgpr_workitem_id 1
		.amdhsa_next_free_vgpr 43
		.amdhsa_next_free_sgpr 43
		.amdhsa_accum_offset 44
		.amdhsa_reserve_vcc 1
		.amdhsa_reserve_flat_scratch 0
		.amdhsa_float_round_mode_32 0
		.amdhsa_float_round_mode_16_64 0
		.amdhsa_float_denorm_mode_32 3
		.amdhsa_float_denorm_mode_16_64 3
		.amdhsa_dx10_clamp 1
		.amdhsa_ieee_mode 1
		.amdhsa_fp16_overflow 0
		.amdhsa_tg_split 0
		.amdhsa_exception_fp_ieee_invalid_op 0
		.amdhsa_exception_fp_denorm_src 0
		.amdhsa_exception_fp_ieee_div_zero 0
		.amdhsa_exception_fp_ieee_overflow 0
		.amdhsa_exception_fp_ieee_underflow 0
		.amdhsa_exception_fp_ieee_inexact 0
		.amdhsa_exception_int_div_zero 0
	.end_amdhsa_kernel
	.section	.text._ZN9rocsparseL14nnz_kernel_rowILi64ELi16EllDF16_EEv16rocsparse_order_T2_S2_PKT3_lPT1_,"axG",@progbits,_ZN9rocsparseL14nnz_kernel_rowILi64ELi16EllDF16_EEv16rocsparse_order_T2_S2_PKT3_lPT1_,comdat
.Lfunc_end26:
	.size	_ZN9rocsparseL14nnz_kernel_rowILi64ELi16EllDF16_EEv16rocsparse_order_T2_S2_PKT3_lPT1_, .Lfunc_end26-_ZN9rocsparseL14nnz_kernel_rowILi64ELi16EllDF16_EEv16rocsparse_order_T2_S2_PKT3_lPT1_
                                        ; -- End function
	.section	.AMDGPU.csdata,"",@progbits
; Kernel info:
; codeLenInByte = 5284
; NumSgprs: 47
; NumVgprs: 43
; NumAgprs: 0
; TotalNumVgprs: 43
; ScratchSize: 0
; MemoryBound: 0
; FloatMode: 240
; IeeeMode: 1
; LDSByteSize: 32768 bytes/workgroup (compile time only)
; SGPRBlocks: 5
; VGPRBlocks: 5
; NumSGPRsForWavesPerEU: 47
; NumVGPRsForWavesPerEU: 43
; AccumOffset: 44
; Occupancy: 8
; WaveLimiterHint : 0
; COMPUTE_PGM_RSRC2:SCRATCH_EN: 0
; COMPUTE_PGM_RSRC2:USER_SGPR: 6
; COMPUTE_PGM_RSRC2:TRAP_HANDLER: 0
; COMPUTE_PGM_RSRC2:TGID_X_EN: 1
; COMPUTE_PGM_RSRC2:TGID_Y_EN: 0
; COMPUTE_PGM_RSRC2:TGID_Z_EN: 0
; COMPUTE_PGM_RSRC2:TIDIG_COMP_CNT: 1
; COMPUTE_PGM_RSRC3_GFX90A:ACCUM_OFFSET: 10
; COMPUTE_PGM_RSRC3_GFX90A:TG_SPLIT: 0
	.section	.text._ZN9rocsparseL14nnz_kernel_colILi256EllDF16_EEv16rocsparse_order_T1_S2_PKT2_lPT0_,"axG",@progbits,_ZN9rocsparseL14nnz_kernel_colILi256EllDF16_EEv16rocsparse_order_T1_S2_PKT2_lPT0_,comdat
	.globl	_ZN9rocsparseL14nnz_kernel_colILi256EllDF16_EEv16rocsparse_order_T1_S2_PKT2_lPT0_ ; -- Begin function _ZN9rocsparseL14nnz_kernel_colILi256EllDF16_EEv16rocsparse_order_T1_S2_PKT2_lPT0_
	.p2align	8
	.type	_ZN9rocsparseL14nnz_kernel_colILi256EllDF16_EEv16rocsparse_order_T1_S2_PKT2_lPT0_,@function
_ZN9rocsparseL14nnz_kernel_colILi256EllDF16_EEv16rocsparse_order_T1_S2_PKT2_lPT0_: ; @_ZN9rocsparseL14nnz_kernel_colILi256EllDF16_EEv16rocsparse_order_T1_S2_PKT2_lPT0_
; %bb.0:
	s_load_dwordx2 s[8:9], s[4:5], 0x8
	s_load_dword s12, s[4:5], 0x0
	s_load_dwordx4 s[0:3], s[4:5], 0x18
	s_mov_b32 s7, 0
	v_mov_b32_e32 v1, 0
	s_waitcnt lgkmcnt(0)
	s_ashr_i32 s10, s9, 31
	s_lshr_b32 s10, s10, 24
	s_add_u32 s10, s8, s10
	s_addc_u32 s11, s9, 0
	s_and_b32 s10, s10, 0xffffff00
	s_cmp_eq_u32 s12, 1
	s_cbranch_scc1 .LBB27_6
; %bb.1:
	v_mov_b32_e32 v2, 0x100
	v_mov_b32_e32 v3, 0
	v_cmp_lt_i64_e32 vcc, s[8:9], v[2:3]
	v_pk_mov_b32 v[2:3], 0, 0
	s_cbranch_vccnz .LBB27_7
; %bb.2:
	v_mad_u64_u32 v[2:3], s[12:13], s2, v0, 0
	v_mov_b32_e32 v4, v3
	v_mad_u64_u32 v[4:5], s[12:13], s3, v0, v[4:5]
	s_lshl_b64 s[12:13], s[6:7], 1
	v_mov_b32_e32 v3, v4
	s_add_u32 s12, s0, s12
	v_lshlrev_b64 v[2:3], 1, v[2:3]
	s_addc_u32 s13, s1, s13
	v_mov_b32_e32 v5, s13
	v_add_co_u32_e32 v4, vcc, s12, v2
	s_lshl_b64 s[12:13], s[2:3], 9
	v_addc_co_u32_e32 v5, vcc, v5, v3, vcc
	s_mov_b64 s[14:15], 0
	v_pk_mov_b32 v[2:3], 0, 0
	v_mov_b32_e32 v8, s13
	v_pk_mov_b32 v[6:7], s[10:11], s[10:11] op_sel:[0,1]
	s_branch .LBB27_4
.LBB27_3:                               ;   in Loop: Header=BB27_4 Depth=1
	s_or_b64 exec, exec, s[16:17]
	s_add_u32 s14, s14, 0x100
	v_add_co_u32_e32 v4, vcc, s12, v4
	s_addc_u32 s15, s15, 0
	v_addc_co_u32_e32 v5, vcc, v5, v8, vcc
	v_cmp_ge_i64_e32 vcc, s[14:15], v[6:7]
	s_cbranch_vccnz .LBB27_7
.LBB27_4:                               ; =>This Inner Loop Header: Depth=1
	v_mov_b32_e32 v9, s15
	v_add_co_u32_e32 v10, vcc, s14, v0
	v_addc_co_u32_e32 v11, vcc, 0, v9, vcc
	v_cmp_gt_i64_e32 vcc, s[8:9], v[10:11]
	s_and_saveexec_b64 s[16:17], vcc
	s_cbranch_execz .LBB27_3
; %bb.5:                                ;   in Loop: Header=BB27_4 Depth=1
	global_load_ushort v9, v[4:5], off
	s_waitcnt vmcnt(0)
	v_cmp_neq_f16_e32 vcc, 0, v9
	v_cndmask_b32_e64 v9, 0, 1, vcc
	v_add_co_u32_e32 v2, vcc, v2, v9
	v_addc_co_u32_e32 v3, vcc, 0, v3, vcc
	s_branch .LBB27_3
.LBB27_6:
	s_mov_b64 s[12:13], 0
                                        ; implicit-def: $vgpr2_vgpr3
                                        ; implicit-def: $vgpr4_vgpr5
	s_cbranch_execnz .LBB27_10
	s_branch .LBB27_16
.LBB27_7:
	v_mov_b32_e32 v4, s11
	v_add_co_u32_e32 v6, vcc, s10, v0
	v_addc_co_u32_e32 v7, vcc, 0, v4, vcc
	v_cmp_gt_i64_e32 vcc, s[8:9], v[6:7]
	s_mov_b64 s[14:15], 0
	s_mov_b64 s[12:13], 0
                                        ; implicit-def: $vgpr4_vgpr5
	s_and_saveexec_b64 s[16:17], vcc
	s_xor_b64 s[16:17], exec, s[16:17]
	s_cbranch_execz .LBB27_9
; %bb.8:
	v_mad_u64_u32 v[4:5], s[18:19], v6, s2, 0
	v_mul_lo_u32 v7, v7, s2
	v_mul_lo_u32 v8, v6, s3
	s_lshl_b64 s[18:19], s[6:7], 1
	v_add3_u32 v5, v5, v8, v7
	s_add_u32 s18, s18, s0
	v_lshlrev_b64 v[4:5], 1, v[4:5]
	s_addc_u32 s19, s19, s1
	v_mov_b32_e32 v6, s19
	v_add_co_u32_e32 v4, vcc, s18, v4
	s_mov_b64 s[12:13], exec
	v_addc_co_u32_e32 v5, vcc, v6, v5, vcc
.LBB27_9:
	s_or_b64 exec, exec, s[16:17]
	s_and_b64 vcc, exec, s[14:15]
	s_cbranch_vccz .LBB27_16
.LBB27_10:
	s_mul_i32 s3, s6, s3
	s_mul_hi_u32 s14, s6, s2
	s_add_i32 s3, s14, s3
	s_mul_i32 s2, s6, s2
	s_lshl_b64 s[2:3], s[2:3], 1
	v_cmp_gt_i64_e32 vcc, s[8:9], v[0:1]
	s_add_u32 s0, s0, s2
	v_cndmask_b32_e32 v1, 0, v0, vcc
	s_addc_u32 s1, s1, s3
	v_lshlrev_b32_e32 v1, 1, v1
	v_mov_b32_e32 v2, s1
	v_add_co_u32_e32 v6, vcc, s0, v1
	v_addc_co_u32_e32 v7, vcc, 0, v2, vcc
	v_mov_b32_e32 v2, 0x100
	v_mov_b32_e32 v3, 0
	v_cmp_lt_i64_e32 vcc, s[8:9], v[2:3]
	v_pk_mov_b32 v[2:3], 0, 0
	s_cbranch_vccnz .LBB27_13
; %bb.11:
	s_mov_b64 s[2:3], 0
	v_pk_mov_b32 v[2:3], 0, 0
	v_pk_mov_b32 v[4:5], s[10:11], s[10:11] op_sel:[0,1]
	v_pk_mov_b32 v[8:9], v[6:7], v[6:7] op_sel:[0,1]
.LBB27_12:                              ; =>This Inner Loop Header: Depth=1
	global_load_ushort v1, v[8:9], off
	s_add_u32 s2, s2, 0x100
	v_add_co_u32_e32 v8, vcc, 0x200, v8
	s_addc_u32 s3, s3, 0
	v_addc_co_u32_e32 v9, vcc, 0, v9, vcc
	v_cmp_ge_i64_e32 vcc, s[2:3], v[4:5]
	s_and_b64 vcc, exec, vcc
	s_waitcnt vmcnt(0)
	v_cmp_neq_f16_e64 s[0:1], 0, v1
	v_cndmask_b32_e64 v1, 0, 1, s[0:1]
	v_add_co_u32_e64 v2, s[0:1], v2, v1
	v_addc_co_u32_e64 v3, s[0:1], 0, v3, s[0:1]
	s_cbranch_vccz .LBB27_12
.LBB27_13:
	v_mov_b32_e32 v1, s11
	v_add_co_u32_e32 v4, vcc, s10, v0
	v_addc_co_u32_e32 v5, vcc, 0, v1, vcc
	v_cmp_gt_i64_e32 vcc, s[8:9], v[4:5]
                                        ; implicit-def: $vgpr4_vgpr5
	s_and_saveexec_b64 s[0:1], vcc
; %bb.14:
	s_lshl_b64 s[2:3], s[10:11], 1
	v_mov_b32_e32 v1, s3
	v_add_co_u32_e32 v4, vcc, s2, v6
	v_addc_co_u32_e32 v5, vcc, v7, v1, vcc
	s_or_b64 s[12:13], s[12:13], exec
; %bb.15:
	s_or_b64 exec, exec, s[0:1]
.LBB27_16:
	s_and_saveexec_b64 s[0:1], s[12:13]
	s_cbranch_execz .LBB27_18
; %bb.17:
	global_load_ushort v1, v[4:5], off
	s_waitcnt vmcnt(0)
	v_cmp_neq_f16_e32 vcc, 0, v1
	v_cndmask_b32_e64 v1, 0, 1, vcc
	v_add_co_u32_e32 v2, vcc, v2, v1
	v_addc_co_u32_e32 v3, vcc, 0, v3, vcc
.LBB27_18:
	s_or_b64 exec, exec, s[0:1]
	v_lshlrev_b32_e32 v1, 3, v0
	ds_write_b64 v1, v[2:3]
	v_mov_b32_e32 v2, 0x100
	v_mov_b32_e32 v3, 0
	v_cmp_lt_i64_e32 vcc, s[8:9], v[2:3]
	s_mov_b64 s[2:3], -1
	v_cmp_eq_u32_e64 s[0:1], 0, v0
	s_waitcnt lgkmcnt(0)
	s_cbranch_vccnz .LBB27_22
; %bb.19:
	s_and_b64 vcc, exec, s[2:3]
	s_cbranch_vccnz .LBB27_31
.LBB27_20:
	v_cmp_eq_u32_e32 vcc, 0, v0
	s_and_saveexec_b64 s[0:1], vcc
	s_cbranch_execnz .LBB27_48
.LBB27_21:
	s_endpgm
.LBB27_22:
	v_cmp_gt_i64_e64 s[2:3], s[8:9], 1
	s_mov_b64 s[10:11], 1
	s_and_b64 s[2:3], s[0:1], s[2:3]
	s_barrier
	s_and_saveexec_b64 s[0:1], s[2:3]
	s_cbranch_execz .LBB27_30
; %bb.23:
	v_mov_b32_e32 v2, 0
	s_add_u32 s11, s8, -1
	ds_read_b64 v[2:3], v2
	s_addc_u32 s3, s9, -1
	s_add_u32 s8, s8, -2
	s_addc_u32 s9, s9, -1
	v_cmp_lt_u64_e64 s[8:9], s[8:9], 7
	s_and_b64 vcc, exec, s[8:9]
	s_cbranch_vccnz .LBB27_26
; %bb.24:
	s_and_b32 s2, s11, -8
	s_mov_b64 s[8:9], 0
	s_mov_b32 s12, 8
.LBB27_25:                              ; =>This Inner Loop Header: Depth=1
	v_mov_b32_e32 v16, s12
	ds_read2_b64 v[4:7], v16 offset1:1
	ds_read2_b64 v[8:11], v16 offset0:2 offset1:3
	ds_read2_b64 v[12:15], v16 offset0:4 offset1:5
	;; [unrolled: 1-line block ×3, first 2 shown]
	s_add_u32 s14, s8, 8
	s_waitcnt lgkmcnt(3)
	v_add_co_u32_e32 v2, vcc, v2, v4
	v_addc_co_u32_e32 v3, vcc, v3, v5, vcc
	v_add_co_u32_e32 v2, vcc, v2, v6
	v_addc_co_u32_e32 v3, vcc, v3, v7, vcc
	s_waitcnt lgkmcnt(2)
	v_add_co_u32_e32 v2, vcc, v2, v8
	v_addc_co_u32_e32 v3, vcc, v3, v9, vcc
	v_add_co_u32_e32 v2, vcc, v2, v10
	v_addc_co_u32_e32 v3, vcc, v3, v11, vcc
	;; [unrolled: 5-line block ×3, first 2 shown]
	s_waitcnt lgkmcnt(0)
	v_add_co_u32_e32 v2, vcc, v2, v16
	v_addc_co_u32_e32 v3, vcc, v3, v17, vcc
	s_addc_u32 s15, s9, 0
	s_add_i32 s12, s12, 64
	s_add_u32 s10, s8, 9
	v_add_co_u32_e32 v2, vcc, v2, v18
	s_cmp_lg_u64 s[2:3], s[14:15]
	s_mov_b64 s[8:9], s[14:15]
	v_addc_co_u32_e32 v3, vcc, v3, v19, vcc
	s_cbranch_scc1 .LBB27_25
.LBB27_26:
	s_and_b32 s2, s11, 7
	s_mov_b32 s3, 0
	s_cmp_eq_u64 s[2:3], 0
	s_cbranch_scc1 .LBB27_29
; %bb.27:
	s_lshl_b32 s8, s10, 3
.LBB27_28:                              ; =>This Inner Loop Header: Depth=1
	v_mov_b32_e32 v4, s8
	ds_read_b64 v[4:5], v4
	s_add_i32 s8, s8, 8
	s_add_u32 s2, s2, -1
	s_addc_u32 s3, s3, -1
	s_cmp_lg_u64 s[2:3], 0
	s_waitcnt lgkmcnt(0)
	v_add_co_u32_e32 v2, vcc, v2, v4
	v_addc_co_u32_e32 v3, vcc, v3, v5, vcc
	s_cbranch_scc1 .LBB27_28
.LBB27_29:
	v_mov_b32_e32 v4, 0
	s_waitcnt lgkmcnt(0)
	ds_write_b64 v4, v[2:3]
.LBB27_30:
	s_or_b64 exec, exec, s[0:1]
	s_waitcnt lgkmcnt(0)
	s_barrier
	s_branch .LBB27_20
.LBB27_31:
	s_movk_i32 s0, 0x80
	v_cmp_gt_u32_e32 vcc, s0, v0
	s_barrier
	s_and_saveexec_b64 s[0:1], vcc
	s_cbranch_execz .LBB27_33
; %bb.32:
	ds_read2st64_b64 v[2:5], v1 offset1:2
	s_waitcnt lgkmcnt(0)
	v_add_co_u32_e32 v2, vcc, v2, v4
	v_addc_co_u32_e32 v3, vcc, v3, v5, vcc
	ds_write_b64 v1, v[2:3]
.LBB27_33:
	s_or_b64 exec, exec, s[0:1]
	v_cmp_gt_u32_e32 vcc, 64, v0
	s_waitcnt lgkmcnt(0)
	s_barrier
	s_and_saveexec_b64 s[0:1], vcc
	s_cbranch_execz .LBB27_35
; %bb.34:
	ds_read2st64_b64 v[2:5], v1 offset1:1
	s_waitcnt lgkmcnt(0)
	v_add_co_u32_e32 v2, vcc, v2, v4
	v_addc_co_u32_e32 v3, vcc, v3, v5, vcc
	ds_write_b64 v1, v[2:3]
.LBB27_35:
	s_or_b64 exec, exec, s[0:1]
	v_cmp_gt_u32_e32 vcc, 32, v0
	s_waitcnt lgkmcnt(0)
	s_barrier
	s_and_saveexec_b64 s[0:1], vcc
	s_cbranch_execz .LBB27_37
; %bb.36:
	ds_read2_b64 v[2:5], v1 offset1:32
	s_waitcnt lgkmcnt(0)
	v_add_co_u32_e32 v2, vcc, v2, v4
	v_addc_co_u32_e32 v3, vcc, v3, v5, vcc
	ds_write_b64 v1, v[2:3]
.LBB27_37:
	s_or_b64 exec, exec, s[0:1]
	v_cmp_gt_u32_e32 vcc, 16, v0
	s_waitcnt lgkmcnt(0)
	s_barrier
	s_and_saveexec_b64 s[0:1], vcc
	s_cbranch_execz .LBB27_39
; %bb.38:
	ds_read2_b64 v[2:5], v1 offset1:16
	s_waitcnt lgkmcnt(0)
	v_add_co_u32_e32 v2, vcc, v2, v4
	v_addc_co_u32_e32 v3, vcc, v3, v5, vcc
	ds_write_b64 v1, v[2:3]
.LBB27_39:
	;; [unrolled: 13-line block ×5, first 2 shown]
	s_or_b64 exec, exec, s[0:1]
	v_cmp_eq_u32_e32 vcc, 0, v0
	s_waitcnt lgkmcnt(0)
	s_barrier
	s_and_saveexec_b64 s[0:1], vcc
	s_cbranch_execz .LBB27_47
; %bb.46:
	v_mov_b32_e32 v1, 0
	ds_read_b128 v[2:5], v1
	s_waitcnt lgkmcnt(0)
	v_add_co_u32_e32 v2, vcc, v2, v4
	v_addc_co_u32_e32 v3, vcc, v3, v5, vcc
	ds_write_b64 v1, v[2:3]
.LBB27_47:
	s_or_b64 exec, exec, s[0:1]
	s_waitcnt lgkmcnt(0)
	s_barrier
	v_cmp_eq_u32_e32 vcc, 0, v0
	s_and_saveexec_b64 s[0:1], vcc
	s_cbranch_execz .LBB27_21
.LBB27_48:
	s_load_dwordx2 s[0:1], s[4:5], 0x28
	v_mov_b32_e32 v2, 0
	ds_read_b64 v[0:1], v2
	s_lshl_b64 s[2:3], s[6:7], 3
	s_waitcnt lgkmcnt(0)
	s_add_u32 s0, s0, s2
	s_addc_u32 s1, s1, s3
	global_store_dwordx2 v2, v[0:1], s[0:1]
	s_endpgm
	.section	.rodata,"a",@progbits
	.p2align	6, 0x0
	.amdhsa_kernel _ZN9rocsparseL14nnz_kernel_colILi256EllDF16_EEv16rocsparse_order_T1_S2_PKT2_lPT0_
		.amdhsa_group_segment_fixed_size 2048
		.amdhsa_private_segment_fixed_size 0
		.amdhsa_kernarg_size 48
		.amdhsa_user_sgpr_count 6
		.amdhsa_user_sgpr_private_segment_buffer 1
		.amdhsa_user_sgpr_dispatch_ptr 0
		.amdhsa_user_sgpr_queue_ptr 0
		.amdhsa_user_sgpr_kernarg_segment_ptr 1
		.amdhsa_user_sgpr_dispatch_id 0
		.amdhsa_user_sgpr_flat_scratch_init 0
		.amdhsa_user_sgpr_kernarg_preload_length 0
		.amdhsa_user_sgpr_kernarg_preload_offset 0
		.amdhsa_user_sgpr_private_segment_size 0
		.amdhsa_uses_dynamic_stack 0
		.amdhsa_system_sgpr_private_segment_wavefront_offset 0
		.amdhsa_system_sgpr_workgroup_id_x 1
		.amdhsa_system_sgpr_workgroup_id_y 0
		.amdhsa_system_sgpr_workgroup_id_z 0
		.amdhsa_system_sgpr_workgroup_info 0
		.amdhsa_system_vgpr_workitem_id 0
		.amdhsa_next_free_vgpr 20
		.amdhsa_next_free_sgpr 20
		.amdhsa_accum_offset 20
		.amdhsa_reserve_vcc 1
		.amdhsa_reserve_flat_scratch 0
		.amdhsa_float_round_mode_32 0
		.amdhsa_float_round_mode_16_64 0
		.amdhsa_float_denorm_mode_32 3
		.amdhsa_float_denorm_mode_16_64 3
		.amdhsa_dx10_clamp 1
		.amdhsa_ieee_mode 1
		.amdhsa_fp16_overflow 0
		.amdhsa_tg_split 0
		.amdhsa_exception_fp_ieee_invalid_op 0
		.amdhsa_exception_fp_denorm_src 0
		.amdhsa_exception_fp_ieee_div_zero 0
		.amdhsa_exception_fp_ieee_overflow 0
		.amdhsa_exception_fp_ieee_underflow 0
		.amdhsa_exception_fp_ieee_inexact 0
		.amdhsa_exception_int_div_zero 0
	.end_amdhsa_kernel
	.section	.text._ZN9rocsparseL14nnz_kernel_colILi256EllDF16_EEv16rocsparse_order_T1_S2_PKT2_lPT0_,"axG",@progbits,_ZN9rocsparseL14nnz_kernel_colILi256EllDF16_EEv16rocsparse_order_T1_S2_PKT2_lPT0_,comdat
.Lfunc_end27:
	.size	_ZN9rocsparseL14nnz_kernel_colILi256EllDF16_EEv16rocsparse_order_T1_S2_PKT2_lPT0_, .Lfunc_end27-_ZN9rocsparseL14nnz_kernel_colILi256EllDF16_EEv16rocsparse_order_T1_S2_PKT2_lPT0_
                                        ; -- End function
	.section	.AMDGPU.csdata,"",@progbits
; Kernel info:
; codeLenInByte = 1564
; NumSgprs: 24
; NumVgprs: 20
; NumAgprs: 0
; TotalNumVgprs: 20
; ScratchSize: 0
; MemoryBound: 0
; FloatMode: 240
; IeeeMode: 1
; LDSByteSize: 2048 bytes/workgroup (compile time only)
; SGPRBlocks: 2
; VGPRBlocks: 2
; NumSGPRsForWavesPerEU: 24
; NumVGPRsForWavesPerEU: 20
; AccumOffset: 20
; Occupancy: 8
; WaveLimiterHint : 0
; COMPUTE_PGM_RSRC2:SCRATCH_EN: 0
; COMPUTE_PGM_RSRC2:USER_SGPR: 6
; COMPUTE_PGM_RSRC2:TRAP_HANDLER: 0
; COMPUTE_PGM_RSRC2:TGID_X_EN: 1
; COMPUTE_PGM_RSRC2:TGID_Y_EN: 0
; COMPUTE_PGM_RSRC2:TGID_Z_EN: 0
; COMPUTE_PGM_RSRC2:TIDIG_COMP_CNT: 0
; COMPUTE_PGM_RSRC3_GFX90A:ACCUM_OFFSET: 4
; COMPUTE_PGM_RSRC3_GFX90A:TG_SPLIT: 0
	.section	.text._ZN9rocsparseL14nnz_kernel_rowILi64ELi16EllfEEv16rocsparse_order_T2_S2_PKT3_lPT1_,"axG",@progbits,_ZN9rocsparseL14nnz_kernel_rowILi64ELi16EllfEEv16rocsparse_order_T2_S2_PKT3_lPT1_,comdat
	.globl	_ZN9rocsparseL14nnz_kernel_rowILi64ELi16EllfEEv16rocsparse_order_T2_S2_PKT3_lPT1_ ; -- Begin function _ZN9rocsparseL14nnz_kernel_rowILi64ELi16EllfEEv16rocsparse_order_T2_S2_PKT3_lPT1_
	.p2align	8
	.type	_ZN9rocsparseL14nnz_kernel_rowILi64ELi16EllfEEv16rocsparse_order_T2_S2_PKT3_lPT1_,@function
_ZN9rocsparseL14nnz_kernel_rowILi64ELi16EllfEEv16rocsparse_order_T2_S2_PKT3_lPT1_: ; @_ZN9rocsparseL14nnz_kernel_rowILi64ELi16EllfEEv16rocsparse_order_T2_S2_PKT3_lPT1_
; %bb.0:
	s_load_dword s0, s[4:5], 0x3c
	s_load_dwordx2 s[10:11], s[4:5], 0x28
	s_load_dword s42, s[4:5], 0x0
	s_load_dwordx8 s[12:19], s[4:5], 0x8
	v_and_b32_e32 v1, 0x3ff, v0
	s_waitcnt lgkmcnt(0)
	s_and_b32 s0, s0, 0xffff
	v_bfe_u32 v0, v0, 10, 10
	v_mad_u32_u24 v37, v0, s0, v1
	s_ashr_i32 s0, s15, 31
	s_lshl_b32 s33, s6, 8
	s_lshr_b32 s0, s0, 26
	s_mov_b32 s20, 0
	s_add_u32 s0, s14, s0
	v_mov_b32_e32 v19, 0
	v_and_b32_e32 v38, 63, v37
	s_addc_u32 s31, s15, 0
	s_and_b32 s30, s0, 0xffffffc0
	v_lshrrev_b32_e32 v0, 4, v37
	s_mov_b32 s21, s20
	v_or_b32_e32 v18, s33, v38
	s_sub_u32 s28, s14, s30
	v_and_b32_e32 v16, 0x7ffffc, v0
	v_mov_b32_e32 v17, v19
	s_mov_b32 s22, s20
	s_mov_b32 s23, s20
	;; [unrolled: 1-line block ×6, first 2 shown]
	v_pk_mov_b32 v[0:1], s[20:21], s[20:21] op_sel:[0,1]
	s_subb_u32 s29, s15, s31
	v_cmp_gt_i64_e32 vcc, s[30:31], v[16:17]
	v_pk_mov_b32 v[2:3], s[22:23], s[22:23] op_sel:[0,1]
	v_pk_mov_b32 v[4:5], s[24:25], s[24:25] op_sel:[0,1]
	;; [unrolled: 1-line block ×3, first 2 shown]
	v_or_b32_e32 v20, 64, v18
	s_and_saveexec_b64 s[34:35], vcc
	s_cbranch_execz .LBB28_28
; %bb.1:
	v_or_b32_e32 v0, 0x80, v18
	v_mov_b32_e32 v1, v19
	v_cmp_gt_i64_e64 s[4:5], s[12:13], v[0:1]
	v_or_b32_e32 v0, 0xc0, v18
	v_cmp_gt_i64_e64 s[6:7], s[12:13], v[0:1]
	v_add_co_u32_e32 v0, vcc, s33, v38
	v_addc_co_u32_e64 v1, s[8:9], 0, 0, vcc
	v_mul_lo_u32 v4, s19, v0
	v_mul_lo_u32 v5, s18, v1
	v_mad_u64_u32 v[2:3], s[8:9], s18, v0, 0
	v_add3_u32 v3, v3, v5, v4
	v_lshrrev_b32_e32 v5, 6, v37
	v_lshlrev_b64 v[2:3], 2, v[2:3]
	v_lshlrev_b32_e32 v4, 4, v5
	v_mov_b32_e32 v21, v19
	v_add_co_u32_e32 v22, vcc, v2, v4
	v_cmp_gt_i64_e64 s[2:3], s[12:13], v[20:21]
	v_addc_co_u32_e32 v21, vcc, 0, v3, vcc
	v_add_co_u32_e32 v2, vcc, 64, v0
	v_addc_co_u32_e32 v3, vcc, 0, v1, vcc
	v_mul_lo_u32 v6, s19, v2
	v_mul_lo_u32 v7, s18, v3
	v_mad_u64_u32 v[2:3], s[8:9], s18, v2, 0
	v_add3_u32 v3, v3, v7, v6
	v_lshlrev_b64 v[2:3], 2, v[2:3]
	v_add_co_u32_e32 v24, vcc, v2, v4
	s_movk_i32 s38, 0x80
	v_addc_co_u32_e32 v23, vcc, 0, v3, vcc
	v_add_co_u32_e32 v2, vcc, s38, v0
	v_addc_co_u32_e32 v3, vcc, 0, v1, vcc
	v_mul_lo_u32 v6, s19, v2
	v_mul_lo_u32 v7, s18, v3
	v_mad_u64_u32 v[2:3], s[8:9], s18, v2, 0
	v_add3_u32 v3, v3, v7, v6
	v_lshlrev_b64 v[2:3], 2, v[2:3]
	v_add_co_u32_e32 v26, vcc, v2, v4
	s_movk_i32 s39, 0xc0
	v_addc_co_u32_e32 v25, vcc, 0, v3, vcc
	v_add_co_u32_e32 v2, vcc, s39, v0
	v_addc_co_u32_e32 v3, vcc, 0, v1, vcc
	v_mul_lo_u32 v6, s19, v2
	v_mul_lo_u32 v7, s18, v3
	v_mad_u64_u32 v[2:3], s[8:9], s18, v2, 0
	v_add3_u32 v3, v3, v7, v6
	v_lshlrev_b64 v[2:3], 2, v[2:3]
	v_add_co_u32_e32 v28, vcc, v2, v4
	v_addc_co_u32_e32 v27, vcc, 0, v3, vcc
	v_or_b32_e32 v3, 12, v4
	v_lshlrev_b64 v[0:1], 2, v[0:1]
	v_mad_u64_u32 v[30:31], s[8:9], s18, v3, v[0:1]
	v_mov_b32_e32 v2, v31
	v_mad_u64_u32 v[2:3], s[8:9], s19, v3, v[2:3]
	v_or_b32_e32 v3, 8, v4
	v_mad_u64_u32 v[32:33], s[8:9], s18, v3, v[0:1]
	v_mov_b32_e32 v29, v2
	v_mov_b32_e32 v2, v33
	v_mad_u64_u32 v[2:3], s[8:9], s19, v3, v[2:3]
	v_or_b32_e32 v3, 4, v4
	v_mad_u64_u32 v[34:35], s[8:9], s18, v3, v[0:1]
	v_mov_b32_e32 v31, v2
	v_mov_b32_e32 v2, v35
	v_mad_u64_u32 v[2:3], s[8:9], s19, v3, v[2:3]
	v_mov_b32_e32 v33, v2
	v_mad_u64_u32 v[2:3], s[8:9], s18, v5, 0
	;; [unrolled: 2-line block ×3, first 2 shown]
	v_mov_b32_e32 v3, v4
	v_lshlrev_b64 v[2:3], 4, v[2:3]
	v_add_co_u32_e32 v36, vcc, v2, v0
	s_cmp_lg_u32 s42, 1
	v_addc_co_u32_e32 v35, vcc, v3, v1, vcc
	v_pk_mov_b32 v[0:1], s[20:21], s[20:21] op_sel:[0,1]
	s_cselect_b64 s[36:37], -1, 0
	v_cmp_gt_i64_e64 s[0:1], s[12:13], v[18:19]
	s_lshl_b64 s[38:39], s[18:19], 8
	s_mov_b64 s[40:41], 0
	v_pk_mov_b32 v[2:3], s[22:23], s[22:23] op_sel:[0,1]
	v_pk_mov_b32 v[4:5], s[24:25], s[24:25] op_sel:[0,1]
	;; [unrolled: 1-line block ×3, first 2 shown]
	s_branch .LBB28_4
.LBB28_2:                               ;   in Loop: Header=BB28_4 Depth=1
	v_pk_mov_b32 v[0:1], v[8:9], v[8:9] op_sel:[0,1]
	v_pk_mov_b32 v[2:3], v[10:11], v[10:11] op_sel:[0,1]
	v_pk_mov_b32 v[4:5], v[12:13], v[12:13] op_sel:[0,1]
	v_pk_mov_b32 v[6:7], v[14:15], v[14:15] op_sel:[0,1]
.LBB28_3:                               ;   in Loop: Header=BB28_4 Depth=1
	s_or_b64 exec, exec, s[20:21]
	v_add_co_u32_e32 v16, vcc, 64, v16
	v_addc_co_u32_e32 v17, vcc, 0, v17, vcc
	v_add_co_u32_e32 v22, vcc, 0x100, v22
	v_addc_co_u32_e32 v21, vcc, 0, v21, vcc
	;; [unrolled: 2-line block ×5, first 2 shown]
	v_mov_b32_e32 v8, s39
	v_add_co_u32_e32 v30, vcc, s38, v30
	v_addc_co_u32_e32 v29, vcc, v29, v8, vcc
	v_add_co_u32_e32 v32, vcc, s38, v32
	v_addc_co_u32_e32 v31, vcc, v31, v8, vcc
	;; [unrolled: 2-line block ×3, first 2 shown]
	v_cmp_le_i64_e32 vcc, s[30:31], v[16:17]
	s_or_b64 s[40:41], vcc, s[40:41]
	v_add_co_u32_e32 v36, vcc, s38, v36
	v_addc_co_u32_e32 v35, vcc, v35, v8, vcc
	s_andn2_b64 exec, exec, s[40:41]
	s_cbranch_execz .LBB28_27
.LBB28_4:                               ; =>This Inner Loop Header: Depth=1
	v_cndmask_b32_e64 v8, 0, 1, s[36:37]
	v_cmp_ne_u32_e64 s[8:9], 1, v8
	s_and_saveexec_b64 s[20:21], s[0:1]
	s_cbranch_execnz .LBB28_8
; %bb.5:                                ;   in Loop: Header=BB28_4 Depth=1
	s_or_b64 exec, exec, s[20:21]
	s_and_saveexec_b64 s[20:21], s[2:3]
	s_cbranch_execnz .LBB28_13
.LBB28_6:                               ;   in Loop: Header=BB28_4 Depth=1
	s_or_b64 exec, exec, s[20:21]
	s_and_saveexec_b64 s[20:21], s[4:5]
	s_cbranch_execnz .LBB28_18
.LBB28_7:                               ;   in Loop: Header=BB28_4 Depth=1
	s_or_b64 exec, exec, s[20:21]
	s_and_saveexec_b64 s[20:21], s[6:7]
	s_cbranch_execz .LBB28_3
	s_branch .LBB28_23
.LBB28_8:                               ;   in Loop: Header=BB28_4 Depth=1
	s_and_b64 vcc, exec, s[8:9]
	s_cbranch_vccnz .LBB28_10
; %bb.9:                                ;   in Loop: Header=BB28_4 Depth=1
	v_mov_b32_e32 v9, s17
	v_add_co_u32_e32 v8, vcc, s16, v22
	v_addc_co_u32_e32 v9, vcc, v9, v21, vcc
	global_load_dwordx4 v[40:43], v[8:9], off
	v_add_co_u32_e32 v8, vcc, 1, v0
	v_addc_co_u32_e32 v9, vcc, 0, v1, vcc
	v_mov_b32_e32 v10, v2
	v_mov_b32_e32 v11, v3
	;; [unrolled: 1-line block ×6, first 2 shown]
	s_waitcnt vmcnt(0)
	v_cmp_neq_f32_e32 vcc, 0, v40
	v_cndmask_b32_e32 v8, v0, v8, vcc
	v_cndmask_b32_e32 v9, v1, v9, vcc
	v_add_co_u32_e32 v39, vcc, 1, v8
	v_addc_co_u32_e32 v40, vcc, 0, v9, vcc
	v_cmp_neq_f32_e32 vcc, 0, v41
	v_cndmask_b32_e32 v8, v8, v39, vcc
	v_cndmask_b32_e32 v9, v9, v40, vcc
	v_add_co_u32_e32 v39, vcc, 1, v8
	v_addc_co_u32_e32 v40, vcc, 0, v9, vcc
	;; [unrolled: 5-line block ×3, first 2 shown]
	v_cmp_neq_f32_e32 vcc, 0, v43
	v_cndmask_b32_e32 v9, v9, v40, vcc
	v_cndmask_b32_e32 v8, v8, v39, vcc
	s_cbranch_execz .LBB28_11
	s_branch .LBB28_12
.LBB28_10:                              ;   in Loop: Header=BB28_4 Depth=1
                                        ; implicit-def: $vgpr8_vgpr9_vgpr10_vgpr11_vgpr12_vgpr13_vgpr14_vgpr15
.LBB28_11:                              ;   in Loop: Header=BB28_4 Depth=1
	v_mov_b32_e32 v10, s17
	v_add_co_u32_e32 v8, vcc, s16, v36
	v_addc_co_u32_e32 v9, vcc, v10, v35, vcc
	global_load_dword v11, v[8:9], off
	v_add_co_u32_e32 v8, vcc, s16, v34
	v_addc_co_u32_e32 v9, vcc, v10, v33, vcc
	global_load_dword v12, v[8:9], off
	;; [unrolled: 3-line block ×4, first 2 shown]
	v_add_co_u32_e32 v9, vcc, 1, v0
	v_addc_co_u32_e32 v10, vcc, 0, v1, vcc
	s_waitcnt vmcnt(3)
	v_cmp_neq_f32_e32 vcc, 0, v11
	v_cndmask_b32_e32 v0, v0, v9, vcc
	v_cndmask_b32_e32 v1, v1, v10, vcc
	v_add_co_u32_e32 v9, vcc, 1, v0
	v_addc_co_u32_e32 v10, vcc, 0, v1, vcc
	s_waitcnt vmcnt(2)
	v_cmp_neq_f32_e32 vcc, 0, v12
	v_cndmask_b32_e32 v0, v0, v9, vcc
	v_cndmask_b32_e32 v1, v1, v10, vcc
	;; [unrolled: 6-line block ×4, first 2 shown]
	v_pk_mov_b32 v[14:15], v[6:7], v[6:7] op_sel:[0,1]
	v_pk_mov_b32 v[12:13], v[4:5], v[4:5] op_sel:[0,1]
	;; [unrolled: 1-line block ×4, first 2 shown]
.LBB28_12:                              ;   in Loop: Header=BB28_4 Depth=1
	v_pk_mov_b32 v[0:1], v[8:9], v[8:9] op_sel:[0,1]
	v_pk_mov_b32 v[2:3], v[10:11], v[10:11] op_sel:[0,1]
	;; [unrolled: 1-line block ×4, first 2 shown]
	s_or_b64 exec, exec, s[20:21]
	s_and_saveexec_b64 s[20:21], s[2:3]
	s_cbranch_execz .LBB28_6
.LBB28_13:                              ;   in Loop: Header=BB28_4 Depth=1
	s_and_b64 vcc, exec, s[8:9]
	s_cbranch_vccnz .LBB28_15
; %bb.14:                               ;   in Loop: Header=BB28_4 Depth=1
	v_mov_b32_e32 v9, s17
	v_add_co_u32_e32 v8, vcc, s16, v24
	v_addc_co_u32_e32 v9, vcc, v9, v23, vcc
	global_load_dwordx4 v[40:43], v[8:9], off
	v_add_co_u32_e32 v10, vcc, 1, v2
	v_addc_co_u32_e32 v11, vcc, 0, v3, vcc
	v_mov_b32_e32 v8, v0
	v_mov_b32_e32 v9, v1
	v_mov_b32_e32 v12, v4
	v_mov_b32_e32 v13, v5
	v_mov_b32_e32 v14, v6
	v_mov_b32_e32 v15, v7
	s_waitcnt vmcnt(0)
	v_cmp_neq_f32_e32 vcc, 0, v40
	v_cndmask_b32_e32 v10, v2, v10, vcc
	v_cndmask_b32_e32 v11, v3, v11, vcc
	v_add_co_u32_e32 v39, vcc, 1, v10
	v_addc_co_u32_e32 v40, vcc, 0, v11, vcc
	v_cmp_neq_f32_e32 vcc, 0, v41
	v_cndmask_b32_e32 v10, v10, v39, vcc
	v_cndmask_b32_e32 v11, v11, v40, vcc
	v_add_co_u32_e32 v39, vcc, 1, v10
	v_addc_co_u32_e32 v40, vcc, 0, v11, vcc
	;; [unrolled: 5-line block ×3, first 2 shown]
	v_cmp_neq_f32_e32 vcc, 0, v43
	v_cndmask_b32_e32 v11, v11, v40, vcc
	v_cndmask_b32_e32 v10, v10, v39, vcc
	s_cbranch_execz .LBB28_16
	s_branch .LBB28_17
.LBB28_15:                              ;   in Loop: Header=BB28_4 Depth=1
                                        ; implicit-def: $vgpr8_vgpr9_vgpr10_vgpr11_vgpr12_vgpr13_vgpr14_vgpr15
.LBB28_16:                              ;   in Loop: Header=BB28_4 Depth=1
	v_mov_b32_e32 v10, s17
	v_add_co_u32_e32 v8, vcc, s16, v36
	v_addc_co_u32_e32 v9, vcc, v10, v35, vcc
	global_load_dword v11, v[8:9], off offset:256
	v_add_co_u32_e32 v8, vcc, s16, v34
	v_addc_co_u32_e32 v9, vcc, v10, v33, vcc
	global_load_dword v12, v[8:9], off offset:256
	;; [unrolled: 3-line block ×4, first 2 shown]
	v_add_co_u32_e32 v9, vcc, 1, v2
	v_addc_co_u32_e32 v10, vcc, 0, v3, vcc
	s_waitcnt vmcnt(3)
	v_cmp_neq_f32_e32 vcc, 0, v11
	v_cndmask_b32_e32 v2, v2, v9, vcc
	v_cndmask_b32_e32 v3, v3, v10, vcc
	v_add_co_u32_e32 v9, vcc, 1, v2
	v_addc_co_u32_e32 v10, vcc, 0, v3, vcc
	s_waitcnt vmcnt(2)
	v_cmp_neq_f32_e32 vcc, 0, v12
	v_cndmask_b32_e32 v2, v2, v9, vcc
	v_cndmask_b32_e32 v3, v3, v10, vcc
	;; [unrolled: 6-line block ×4, first 2 shown]
	v_pk_mov_b32 v[14:15], v[6:7], v[6:7] op_sel:[0,1]
	v_pk_mov_b32 v[12:13], v[4:5], v[4:5] op_sel:[0,1]
	;; [unrolled: 1-line block ×4, first 2 shown]
.LBB28_17:                              ;   in Loop: Header=BB28_4 Depth=1
	v_pk_mov_b32 v[0:1], v[8:9], v[8:9] op_sel:[0,1]
	v_pk_mov_b32 v[2:3], v[10:11], v[10:11] op_sel:[0,1]
	;; [unrolled: 1-line block ×4, first 2 shown]
	s_or_b64 exec, exec, s[20:21]
	s_and_saveexec_b64 s[20:21], s[4:5]
	s_cbranch_execz .LBB28_7
.LBB28_18:                              ;   in Loop: Header=BB28_4 Depth=1
	s_and_b64 vcc, exec, s[8:9]
	s_cbranch_vccnz .LBB28_20
; %bb.19:                               ;   in Loop: Header=BB28_4 Depth=1
	v_mov_b32_e32 v9, s17
	v_add_co_u32_e32 v8, vcc, s16, v26
	v_addc_co_u32_e32 v9, vcc, v9, v25, vcc
	global_load_dwordx4 v[40:43], v[8:9], off
	v_add_co_u32_e32 v12, vcc, 1, v4
	v_addc_co_u32_e32 v13, vcc, 0, v5, vcc
	v_mov_b32_e32 v8, v0
	v_mov_b32_e32 v9, v1
	;; [unrolled: 1-line block ×6, first 2 shown]
	s_waitcnt vmcnt(0)
	v_cmp_neq_f32_e32 vcc, 0, v40
	v_cndmask_b32_e32 v12, v4, v12, vcc
	v_cndmask_b32_e32 v13, v5, v13, vcc
	v_add_co_u32_e32 v39, vcc, 1, v12
	v_addc_co_u32_e32 v40, vcc, 0, v13, vcc
	v_cmp_neq_f32_e32 vcc, 0, v41
	v_cndmask_b32_e32 v12, v12, v39, vcc
	v_cndmask_b32_e32 v13, v13, v40, vcc
	v_add_co_u32_e32 v39, vcc, 1, v12
	v_addc_co_u32_e32 v40, vcc, 0, v13, vcc
	;; [unrolled: 5-line block ×3, first 2 shown]
	v_cmp_neq_f32_e32 vcc, 0, v43
	v_cndmask_b32_e32 v13, v13, v40, vcc
	v_cndmask_b32_e32 v12, v12, v39, vcc
	s_cbranch_execz .LBB28_21
	s_branch .LBB28_22
.LBB28_20:                              ;   in Loop: Header=BB28_4 Depth=1
                                        ; implicit-def: $vgpr8_vgpr9_vgpr10_vgpr11_vgpr12_vgpr13_vgpr14_vgpr15
.LBB28_21:                              ;   in Loop: Header=BB28_4 Depth=1
	v_mov_b32_e32 v10, s17
	v_add_co_u32_e32 v8, vcc, s16, v36
	v_addc_co_u32_e32 v9, vcc, v10, v35, vcc
	global_load_dword v11, v[8:9], off offset:512
	v_add_co_u32_e32 v8, vcc, s16, v34
	v_addc_co_u32_e32 v9, vcc, v10, v33, vcc
	global_load_dword v12, v[8:9], off offset:512
	;; [unrolled: 3-line block ×4, first 2 shown]
	v_add_co_u32_e32 v9, vcc, 1, v4
	v_addc_co_u32_e32 v10, vcc, 0, v5, vcc
	s_waitcnt vmcnt(3)
	v_cmp_neq_f32_e32 vcc, 0, v11
	v_cndmask_b32_e32 v4, v4, v9, vcc
	v_cndmask_b32_e32 v5, v5, v10, vcc
	v_add_co_u32_e32 v9, vcc, 1, v4
	v_addc_co_u32_e32 v10, vcc, 0, v5, vcc
	s_waitcnt vmcnt(2)
	v_cmp_neq_f32_e32 vcc, 0, v12
	v_cndmask_b32_e32 v4, v4, v9, vcc
	v_cndmask_b32_e32 v5, v5, v10, vcc
	;; [unrolled: 6-line block ×4, first 2 shown]
	v_pk_mov_b32 v[14:15], v[6:7], v[6:7] op_sel:[0,1]
	v_pk_mov_b32 v[12:13], v[4:5], v[4:5] op_sel:[0,1]
	;; [unrolled: 1-line block ×4, first 2 shown]
.LBB28_22:                              ;   in Loop: Header=BB28_4 Depth=1
	v_pk_mov_b32 v[0:1], v[8:9], v[8:9] op_sel:[0,1]
	v_pk_mov_b32 v[2:3], v[10:11], v[10:11] op_sel:[0,1]
	;; [unrolled: 1-line block ×4, first 2 shown]
	s_or_b64 exec, exec, s[20:21]
	s_and_saveexec_b64 s[20:21], s[6:7]
	s_cbranch_execz .LBB28_3
.LBB28_23:                              ;   in Loop: Header=BB28_4 Depth=1
	s_and_b64 vcc, exec, s[8:9]
	s_cbranch_vccnz .LBB28_25
; %bb.24:                               ;   in Loop: Header=BB28_4 Depth=1
	v_mov_b32_e32 v9, s17
	v_add_co_u32_e32 v8, vcc, s16, v28
	v_addc_co_u32_e32 v9, vcc, v9, v27, vcc
	global_load_dwordx4 v[40:43], v[8:9], off
	v_add_co_u32_e32 v14, vcc, 1, v6
	v_addc_co_u32_e32 v15, vcc, 0, v7, vcc
	v_mov_b32_e32 v8, v0
	v_mov_b32_e32 v9, v1
	;; [unrolled: 1-line block ×6, first 2 shown]
	s_waitcnt vmcnt(0)
	v_cmp_neq_f32_e32 vcc, 0, v40
	v_cndmask_b32_e32 v14, v6, v14, vcc
	v_cndmask_b32_e32 v15, v7, v15, vcc
	v_add_co_u32_e32 v39, vcc, 1, v14
	v_addc_co_u32_e32 v40, vcc, 0, v15, vcc
	v_cmp_neq_f32_e32 vcc, 0, v41
	v_cndmask_b32_e32 v14, v14, v39, vcc
	v_cndmask_b32_e32 v15, v15, v40, vcc
	v_add_co_u32_e32 v39, vcc, 1, v14
	v_addc_co_u32_e32 v40, vcc, 0, v15, vcc
	;; [unrolled: 5-line block ×3, first 2 shown]
	v_cmp_neq_f32_e32 vcc, 0, v43
	v_cndmask_b32_e32 v15, v15, v40, vcc
	v_cndmask_b32_e32 v14, v14, v39, vcc
	s_cbranch_execnz .LBB28_2
	s_branch .LBB28_26
.LBB28_25:                              ;   in Loop: Header=BB28_4 Depth=1
                                        ; implicit-def: $vgpr8_vgpr9_vgpr10_vgpr11_vgpr12_vgpr13_vgpr14_vgpr15
.LBB28_26:                              ;   in Loop: Header=BB28_4 Depth=1
	v_mov_b32_e32 v10, s17
	v_add_co_u32_e32 v8, vcc, s16, v36
	v_addc_co_u32_e32 v9, vcc, v10, v35, vcc
	global_load_dword v11, v[8:9], off offset:768
	v_add_co_u32_e32 v8, vcc, s16, v34
	v_addc_co_u32_e32 v9, vcc, v10, v33, vcc
	global_load_dword v12, v[8:9], off offset:768
	;; [unrolled: 3-line block ×4, first 2 shown]
	v_add_co_u32_e32 v9, vcc, 1, v6
	v_addc_co_u32_e32 v10, vcc, 0, v7, vcc
	s_waitcnt vmcnt(3)
	v_cmp_neq_f32_e32 vcc, 0, v11
	v_cndmask_b32_e32 v6, v6, v9, vcc
	v_cndmask_b32_e32 v7, v7, v10, vcc
	v_add_co_u32_e32 v9, vcc, 1, v6
	v_addc_co_u32_e32 v10, vcc, 0, v7, vcc
	s_waitcnt vmcnt(2)
	v_cmp_neq_f32_e32 vcc, 0, v12
	v_cndmask_b32_e32 v6, v6, v9, vcc
	v_cndmask_b32_e32 v7, v7, v10, vcc
	;; [unrolled: 6-line block ×4, first 2 shown]
	v_pk_mov_b32 v[14:15], v[6:7], v[6:7] op_sel:[0,1]
	v_pk_mov_b32 v[12:13], v[4:5], v[4:5] op_sel:[0,1]
	v_pk_mov_b32 v[10:11], v[2:3], v[2:3] op_sel:[0,1]
	v_pk_mov_b32 v[8:9], v[0:1], v[0:1] op_sel:[0,1]
	s_branch .LBB28_2
.LBB28_27:
	s_or_b64 exec, exec, s[40:41]
.LBB28_28:
	s_or_b64 exec, exec, s[34:35]
	v_cmp_lt_i64_e64 s[0:1], s[28:29], 1
	s_and_b64 vcc, exec, s[0:1]
	s_cbranch_vccnz .LBB28_126
; %bb.29:
	v_lshlrev_b64 v[8:9], 2, v[16:17]
	v_mov_b32_e32 v10, s17
	v_add_co_u32_e32 v22, vcc, s16, v8
	s_cmp_eq_u32 s42, 1
	v_addc_co_u32_e32 v23, vcc, v10, v9, vcc
	s_cselect_b64 s[2:3], -1, 0
	s_cmp_lg_u32 s42, 1
	s_cselect_b64 s[0:1], -1, 0
	v_cmp_gt_i64_e32 vcc, s[12:13], v[18:19]
	v_lshlrev_b64 v[8:9], 2, v[18:19]
	s_and_saveexec_b64 s[4:5], vcc
	s_cbranch_execz .LBB28_53
; %bb.30:
	v_mad_u64_u32 v[10:11], s[6:7], v18, s18, 0
	v_mov_b32_e32 v12, v11
	v_mad_u64_u32 v[12:13], s[6:7], v18, s19, v[12:13]
	v_mov_b32_e32 v11, v12
	v_lshlrev_b64 v[10:11], 2, v[10:11]
	v_add_co_u32_e32 v10, vcc, v22, v10
	v_addc_co_u32_e32 v11, vcc, v23, v11, vcc
	v_mov_b32_e32 v12, s17
	v_add_co_u32_e32 v21, vcc, s16, v8
	v_addc_co_u32_e32 v24, vcc, v12, v9, vcc
	v_cmp_gt_i64_e32 vcc, s[14:15], v[16:17]
	s_and_saveexec_b64 s[6:7], vcc
	s_cbranch_execz .LBB28_34
; %bb.31:
	s_andn2_b64 vcc, exec, s[2:3]
	v_pk_mov_b32 v[12:13], v[10:11], v[10:11] op_sel:[0,1]
	s_cbranch_vccnz .LBB28_33
; %bb.32:
	v_mul_lo_u32 v14, v17, s18
	v_mul_lo_u32 v15, v16, s19
	v_mad_u64_u32 v[12:13], s[8:9], v16, s18, 0
	v_add3_u32 v13, v13, v15, v14
	v_lshlrev_b64 v[12:13], 2, v[12:13]
	v_add_co_u32_e32 v12, vcc, v21, v12
	v_addc_co_u32_e32 v13, vcc, v24, v13, vcc
.LBB28_33:
	global_load_dword v12, v[12:13], off
	s_waitcnt vmcnt(0)
	v_cmp_neq_f32_e32 vcc, 0, v12
	v_cndmask_b32_e64 v12, 0, 1, vcc
	v_add_co_u32_e32 v0, vcc, v0, v12
	v_addc_co_u32_e32 v1, vcc, 0, v1, vcc
.LBB28_34:
	s_or_b64 exec, exec, s[6:7]
	v_or_b32_e32 v12, 1, v16
	v_mov_b32_e32 v13, v17
	v_cmp_gt_i64_e32 vcc, s[14:15], v[12:13]
	s_and_saveexec_b64 s[6:7], vcc
	s_cbranch_execz .LBB28_40
; %bb.35:
	s_andn2_b64 vcc, exec, s[0:1]
	s_cbranch_vccnz .LBB28_37
; %bb.36:
	v_add_co_u32_e32 v14, vcc, 4, v10
	v_addc_co_u32_e32 v15, vcc, 0, v11, vcc
	s_cbranch_execz .LBB28_38
	s_branch .LBB28_39
.LBB28_37:
                                        ; implicit-def: $vgpr14_vgpr15
.LBB28_38:
	v_mul_lo_u32 v14, v13, s18
	v_mul_lo_u32 v15, v12, s19
	v_mad_u64_u32 v[12:13], s[8:9], v12, s18, 0
	v_add3_u32 v13, v13, v15, v14
	v_lshlrev_b64 v[12:13], 2, v[12:13]
	v_add_co_u32_e32 v14, vcc, v21, v12
	v_addc_co_u32_e32 v15, vcc, v24, v13, vcc
.LBB28_39:
	global_load_dword v12, v[14:15], off
	s_waitcnt vmcnt(0)
	v_cmp_neq_f32_e32 vcc, 0, v12
	v_cndmask_b32_e64 v12, 0, 1, vcc
	v_add_co_u32_e32 v0, vcc, v0, v12
	v_addc_co_u32_e32 v1, vcc, 0, v1, vcc
.LBB28_40:
	s_or_b64 exec, exec, s[6:7]
	v_or_b32_e32 v12, 2, v16
	v_mov_b32_e32 v13, v17
	v_cmp_gt_i64_e32 vcc, s[14:15], v[12:13]
	s_and_saveexec_b64 s[6:7], vcc
	s_cbranch_execz .LBB28_46
; %bb.41:
	s_andn2_b64 vcc, exec, s[0:1]
	s_cbranch_vccnz .LBB28_43
; %bb.42:
	v_add_co_u32_e32 v14, vcc, 8, v10
	v_addc_co_u32_e32 v15, vcc, 0, v11, vcc
	s_cbranch_execz .LBB28_44
	s_branch .LBB28_45
.LBB28_43:
                                        ; implicit-def: $vgpr14_vgpr15
.LBB28_44:
	v_mul_lo_u32 v14, v13, s18
	v_mul_lo_u32 v15, v12, s19
	v_mad_u64_u32 v[12:13], s[8:9], v12, s18, 0
	v_add3_u32 v13, v13, v15, v14
	v_lshlrev_b64 v[12:13], 2, v[12:13]
	v_add_co_u32_e32 v14, vcc, v21, v12
	v_addc_co_u32_e32 v15, vcc, v24, v13, vcc
.LBB28_45:
	global_load_dword v12, v[14:15], off
	s_waitcnt vmcnt(0)
	v_cmp_neq_f32_e32 vcc, 0, v12
	v_cndmask_b32_e64 v12, 0, 1, vcc
	v_add_co_u32_e32 v0, vcc, v0, v12
	v_addc_co_u32_e32 v1, vcc, 0, v1, vcc
.LBB28_46:
	s_or_b64 exec, exec, s[6:7]
	v_or_b32_e32 v12, 3, v16
	v_mov_b32_e32 v13, v17
	v_cmp_gt_i64_e32 vcc, s[14:15], v[12:13]
	s_and_saveexec_b64 s[6:7], vcc
	s_cbranch_execz .LBB28_52
; %bb.47:
	s_andn2_b64 vcc, exec, s[0:1]
	s_cbranch_vccnz .LBB28_49
; %bb.48:
	v_add_co_u32_e32 v10, vcc, 12, v10
	v_addc_co_u32_e32 v11, vcc, 0, v11, vcc
	s_cbranch_execz .LBB28_50
	s_branch .LBB28_51
.LBB28_49:
                                        ; implicit-def: $vgpr10_vgpr11
.LBB28_50:
	v_mul_lo_u32 v13, v13, s18
	v_mul_lo_u32 v14, v12, s19
	v_mad_u64_u32 v[10:11], s[8:9], v12, s18, 0
	v_add3_u32 v11, v11, v14, v13
	v_lshlrev_b64 v[10:11], 2, v[10:11]
	v_add_co_u32_e32 v10, vcc, v21, v10
	v_addc_co_u32_e32 v11, vcc, v24, v11, vcc
.LBB28_51:
	global_load_dword v10, v[10:11], off
	s_waitcnt vmcnt(0)
	v_cmp_neq_f32_e32 vcc, 0, v10
	v_cndmask_b32_e64 v10, 0, 1, vcc
	v_add_co_u32_e32 v0, vcc, v0, v10
	v_addc_co_u32_e32 v1, vcc, 0, v1, vcc
.LBB28_52:
	s_or_b64 exec, exec, s[6:7]
.LBB28_53:
	s_or_b64 exec, exec, s[4:5]
	v_mov_b32_e32 v21, v19
	v_cmp_gt_i64_e32 vcc, s[12:13], v[20:21]
	s_and_saveexec_b64 s[4:5], vcc
	s_cbranch_execz .LBB28_77
; %bb.54:
	v_mad_u64_u32 v[10:11], s[6:7], v20, s18, 0
	v_mov_b32_e32 v12, v11
	v_mad_u64_u32 v[12:13], s[6:7], v20, s19, v[12:13]
	v_mov_b32_e32 v11, v12
	v_lshlrev_b64 v[10:11], 2, v[10:11]
	v_add_co_u32_e32 v10, vcc, v22, v10
	v_addc_co_u32_e32 v11, vcc, v23, v11, vcc
	v_mov_b32_e32 v12, s17
	v_add_co_u32_e32 v20, vcc, s16, v8
	v_addc_co_u32_e32 v21, vcc, v12, v9, vcc
	v_cmp_gt_i64_e32 vcc, s[14:15], v[16:17]
	s_and_saveexec_b64 s[6:7], vcc
	s_cbranch_execz .LBB28_58
; %bb.55:
	s_andn2_b64 vcc, exec, s[2:3]
	v_pk_mov_b32 v[12:13], v[10:11], v[10:11] op_sel:[0,1]
	s_cbranch_vccnz .LBB28_57
; %bb.56:
	v_mul_lo_u32 v14, v17, s18
	v_mul_lo_u32 v15, v16, s19
	v_mad_u64_u32 v[12:13], s[8:9], v16, s18, 0
	v_add3_u32 v13, v13, v15, v14
	v_lshlrev_b64 v[12:13], 2, v[12:13]
	v_add_co_u32_e32 v12, vcc, v20, v12
	v_addc_co_u32_e32 v13, vcc, v21, v13, vcc
	v_add_co_u32_e32 v12, vcc, 0x100, v12
	v_addc_co_u32_e32 v13, vcc, 0, v13, vcc
.LBB28_57:
	global_load_dword v12, v[12:13], off
	s_waitcnt vmcnt(0)
	v_cmp_neq_f32_e32 vcc, 0, v12
	v_cndmask_b32_e64 v12, 0, 1, vcc
	v_add_co_u32_e32 v2, vcc, v2, v12
	v_addc_co_u32_e32 v3, vcc, 0, v3, vcc
.LBB28_58:
	s_or_b64 exec, exec, s[6:7]
	v_or_b32_e32 v12, 1, v16
	v_mov_b32_e32 v13, v17
	v_cmp_gt_i64_e32 vcc, s[14:15], v[12:13]
	s_and_saveexec_b64 s[6:7], vcc
	s_cbranch_execz .LBB28_64
; %bb.59:
	s_andn2_b64 vcc, exec, s[0:1]
	s_cbranch_vccnz .LBB28_61
; %bb.60:
	v_add_co_u32_e32 v14, vcc, 4, v10
	v_addc_co_u32_e32 v15, vcc, 0, v11, vcc
	s_cbranch_execz .LBB28_62
	s_branch .LBB28_63
.LBB28_61:
                                        ; implicit-def: $vgpr14_vgpr15
.LBB28_62:
	v_mul_lo_u32 v14, v13, s18
	v_mul_lo_u32 v15, v12, s19
	v_mad_u64_u32 v[12:13], s[8:9], v12, s18, 0
	v_add3_u32 v13, v13, v15, v14
	v_lshlrev_b64 v[12:13], 2, v[12:13]
	v_add_co_u32_e32 v12, vcc, v20, v12
	v_addc_co_u32_e32 v13, vcc, v21, v13, vcc
	v_add_co_u32_e32 v14, vcc, 0x100, v12
	v_addc_co_u32_e32 v15, vcc, 0, v13, vcc
.LBB28_63:
	global_load_dword v12, v[14:15], off
	s_waitcnt vmcnt(0)
	v_cmp_neq_f32_e32 vcc, 0, v12
	v_cndmask_b32_e64 v12, 0, 1, vcc
	v_add_co_u32_e32 v2, vcc, v2, v12
	v_addc_co_u32_e32 v3, vcc, 0, v3, vcc
.LBB28_64:
	s_or_b64 exec, exec, s[6:7]
	v_or_b32_e32 v12, 2, v16
	v_mov_b32_e32 v13, v17
	v_cmp_gt_i64_e32 vcc, s[14:15], v[12:13]
	s_and_saveexec_b64 s[6:7], vcc
	s_cbranch_execz .LBB28_70
; %bb.65:
	s_andn2_b64 vcc, exec, s[0:1]
	s_cbranch_vccnz .LBB28_67
; %bb.66:
	v_add_co_u32_e32 v14, vcc, 8, v10
	v_addc_co_u32_e32 v15, vcc, 0, v11, vcc
	s_cbranch_execz .LBB28_68
	s_branch .LBB28_69
.LBB28_67:
                                        ; implicit-def: $vgpr14_vgpr15
.LBB28_68:
	v_mul_lo_u32 v14, v13, s18
	v_mul_lo_u32 v15, v12, s19
	v_mad_u64_u32 v[12:13], s[8:9], v12, s18, 0
	v_add3_u32 v13, v13, v15, v14
	v_lshlrev_b64 v[12:13], 2, v[12:13]
	v_add_co_u32_e32 v12, vcc, v20, v12
	v_addc_co_u32_e32 v13, vcc, v21, v13, vcc
	v_add_co_u32_e32 v14, vcc, 0x100, v12
	v_addc_co_u32_e32 v15, vcc, 0, v13, vcc
.LBB28_69:
	global_load_dword v12, v[14:15], off
	s_waitcnt vmcnt(0)
	v_cmp_neq_f32_e32 vcc, 0, v12
	v_cndmask_b32_e64 v12, 0, 1, vcc
	v_add_co_u32_e32 v2, vcc, v2, v12
	v_addc_co_u32_e32 v3, vcc, 0, v3, vcc
.LBB28_70:
	s_or_b64 exec, exec, s[6:7]
	v_or_b32_e32 v12, 3, v16
	v_mov_b32_e32 v13, v17
	v_cmp_gt_i64_e32 vcc, s[14:15], v[12:13]
	s_and_saveexec_b64 s[6:7], vcc
	s_cbranch_execz .LBB28_76
; %bb.71:
	s_andn2_b64 vcc, exec, s[0:1]
	s_cbranch_vccnz .LBB28_73
; %bb.72:
	v_add_co_u32_e32 v10, vcc, 12, v10
	v_addc_co_u32_e32 v11, vcc, 0, v11, vcc
	s_cbranch_execz .LBB28_74
	s_branch .LBB28_75
.LBB28_73:
                                        ; implicit-def: $vgpr10_vgpr11
.LBB28_74:
	v_mul_lo_u32 v13, v13, s18
	v_mul_lo_u32 v14, v12, s19
	v_mad_u64_u32 v[10:11], s[8:9], v12, s18, 0
	v_add3_u32 v11, v11, v14, v13
	v_lshlrev_b64 v[10:11], 2, v[10:11]
	v_add_co_u32_e32 v10, vcc, v20, v10
	v_addc_co_u32_e32 v11, vcc, v21, v11, vcc
	v_add_co_u32_e32 v10, vcc, 0x100, v10
	v_addc_co_u32_e32 v11, vcc, 0, v11, vcc
.LBB28_75:
	global_load_dword v10, v[10:11], off
	s_waitcnt vmcnt(0)
	v_cmp_neq_f32_e32 vcc, 0, v10
	v_cndmask_b32_e64 v10, 0, 1, vcc
	v_add_co_u32_e32 v2, vcc, v2, v10
	v_addc_co_u32_e32 v3, vcc, 0, v3, vcc
.LBB28_76:
	s_or_b64 exec, exec, s[6:7]
.LBB28_77:
	s_or_b64 exec, exec, s[4:5]
	v_or_b32_e32 v10, 0x80, v18
	v_mov_b32_e32 v11, v19
	v_cmp_gt_i64_e32 vcc, s[12:13], v[10:11]
	s_and_saveexec_b64 s[4:5], vcc
	s_cbranch_execz .LBB28_101
; %bb.78:
	v_mad_u64_u32 v[12:13], s[6:7], v10, s18, 0
	v_mov_b32_e32 v14, v13
	v_mad_u64_u32 v[10:11], s[6:7], v10, s19, v[14:15]
	v_mov_b32_e32 v13, v10
	v_lshlrev_b64 v[10:11], 2, v[12:13]
	v_add_co_u32_e32 v10, vcc, v22, v10
	v_addc_co_u32_e32 v11, vcc, v23, v11, vcc
	v_mov_b32_e32 v12, s17
	v_add_co_u32_e32 v20, vcc, s16, v8
	v_addc_co_u32_e32 v21, vcc, v12, v9, vcc
	v_cmp_gt_i64_e32 vcc, s[14:15], v[16:17]
	s_and_saveexec_b64 s[6:7], vcc
	s_cbranch_execz .LBB28_82
; %bb.79:
	s_andn2_b64 vcc, exec, s[2:3]
	v_pk_mov_b32 v[12:13], v[10:11], v[10:11] op_sel:[0,1]
	s_cbranch_vccnz .LBB28_81
; %bb.80:
	v_mul_lo_u32 v14, v17, s18
	v_mul_lo_u32 v15, v16, s19
	v_mad_u64_u32 v[12:13], s[8:9], v16, s18, 0
	v_add3_u32 v13, v13, v15, v14
	v_lshlrev_b64 v[12:13], 2, v[12:13]
	v_add_co_u32_e32 v12, vcc, v20, v12
	v_addc_co_u32_e32 v13, vcc, v21, v13, vcc
	v_add_co_u32_e32 v12, vcc, 0x200, v12
	v_addc_co_u32_e32 v13, vcc, 0, v13, vcc
.LBB28_81:
	global_load_dword v12, v[12:13], off
	s_waitcnt vmcnt(0)
	v_cmp_neq_f32_e32 vcc, 0, v12
	v_cndmask_b32_e64 v12, 0, 1, vcc
	v_add_co_u32_e32 v4, vcc, v4, v12
	v_addc_co_u32_e32 v5, vcc, 0, v5, vcc
.LBB28_82:
	s_or_b64 exec, exec, s[6:7]
	v_or_b32_e32 v12, 1, v16
	v_mov_b32_e32 v13, v17
	v_cmp_gt_i64_e32 vcc, s[14:15], v[12:13]
	s_and_saveexec_b64 s[6:7], vcc
	s_cbranch_execz .LBB28_88
; %bb.83:
	s_andn2_b64 vcc, exec, s[0:1]
	s_cbranch_vccnz .LBB28_85
; %bb.84:
	v_add_co_u32_e32 v14, vcc, 4, v10
	v_addc_co_u32_e32 v15, vcc, 0, v11, vcc
	s_cbranch_execz .LBB28_86
	s_branch .LBB28_87
.LBB28_85:
                                        ; implicit-def: $vgpr14_vgpr15
.LBB28_86:
	v_mul_lo_u32 v14, v13, s18
	v_mul_lo_u32 v15, v12, s19
	v_mad_u64_u32 v[12:13], s[8:9], v12, s18, 0
	v_add3_u32 v13, v13, v15, v14
	v_lshlrev_b64 v[12:13], 2, v[12:13]
	v_add_co_u32_e32 v12, vcc, v20, v12
	v_addc_co_u32_e32 v13, vcc, v21, v13, vcc
	v_add_co_u32_e32 v14, vcc, 0x200, v12
	v_addc_co_u32_e32 v15, vcc, 0, v13, vcc
.LBB28_87:
	global_load_dword v12, v[14:15], off
	s_waitcnt vmcnt(0)
	v_cmp_neq_f32_e32 vcc, 0, v12
	v_cndmask_b32_e64 v12, 0, 1, vcc
	v_add_co_u32_e32 v4, vcc, v4, v12
	v_addc_co_u32_e32 v5, vcc, 0, v5, vcc
.LBB28_88:
	s_or_b64 exec, exec, s[6:7]
	v_or_b32_e32 v12, 2, v16
	v_mov_b32_e32 v13, v17
	v_cmp_gt_i64_e32 vcc, s[14:15], v[12:13]
	s_and_saveexec_b64 s[6:7], vcc
	s_cbranch_execz .LBB28_94
; %bb.89:
	s_andn2_b64 vcc, exec, s[0:1]
	s_cbranch_vccnz .LBB28_91
; %bb.90:
	v_add_co_u32_e32 v14, vcc, 8, v10
	v_addc_co_u32_e32 v15, vcc, 0, v11, vcc
	s_cbranch_execz .LBB28_92
	s_branch .LBB28_93
.LBB28_91:
                                        ; implicit-def: $vgpr14_vgpr15
.LBB28_92:
	v_mul_lo_u32 v14, v13, s18
	v_mul_lo_u32 v15, v12, s19
	v_mad_u64_u32 v[12:13], s[8:9], v12, s18, 0
	v_add3_u32 v13, v13, v15, v14
	v_lshlrev_b64 v[12:13], 2, v[12:13]
	v_add_co_u32_e32 v12, vcc, v20, v12
	v_addc_co_u32_e32 v13, vcc, v21, v13, vcc
	v_add_co_u32_e32 v14, vcc, 0x200, v12
	v_addc_co_u32_e32 v15, vcc, 0, v13, vcc
.LBB28_93:
	global_load_dword v12, v[14:15], off
	s_waitcnt vmcnt(0)
	v_cmp_neq_f32_e32 vcc, 0, v12
	v_cndmask_b32_e64 v12, 0, 1, vcc
	v_add_co_u32_e32 v4, vcc, v4, v12
	v_addc_co_u32_e32 v5, vcc, 0, v5, vcc
.LBB28_94:
	s_or_b64 exec, exec, s[6:7]
	v_or_b32_e32 v12, 3, v16
	v_mov_b32_e32 v13, v17
	v_cmp_gt_i64_e32 vcc, s[14:15], v[12:13]
	s_and_saveexec_b64 s[6:7], vcc
	s_cbranch_execz .LBB28_100
; %bb.95:
	s_andn2_b64 vcc, exec, s[0:1]
	s_cbranch_vccnz .LBB28_97
; %bb.96:
	v_add_co_u32_e32 v10, vcc, 12, v10
	v_addc_co_u32_e32 v11, vcc, 0, v11, vcc
	s_cbranch_execz .LBB28_98
	s_branch .LBB28_99
.LBB28_97:
                                        ; implicit-def: $vgpr10_vgpr11
.LBB28_98:
	v_mul_lo_u32 v13, v13, s18
	v_mul_lo_u32 v14, v12, s19
	v_mad_u64_u32 v[10:11], s[8:9], v12, s18, 0
	v_add3_u32 v11, v11, v14, v13
	v_lshlrev_b64 v[10:11], 2, v[10:11]
	v_add_co_u32_e32 v10, vcc, v20, v10
	v_addc_co_u32_e32 v11, vcc, v21, v11, vcc
	v_add_co_u32_e32 v10, vcc, 0x200, v10
	v_addc_co_u32_e32 v11, vcc, 0, v11, vcc
.LBB28_99:
	global_load_dword v10, v[10:11], off
	s_waitcnt vmcnt(0)
	v_cmp_neq_f32_e32 vcc, 0, v10
	v_cndmask_b32_e64 v10, 0, 1, vcc
	v_add_co_u32_e32 v4, vcc, v4, v10
	v_addc_co_u32_e32 v5, vcc, 0, v5, vcc
.LBB28_100:
	s_or_b64 exec, exec, s[6:7]
.LBB28_101:
	s_or_b64 exec, exec, s[4:5]
	v_or_b32_e32 v18, 0xc0, v18
	v_cmp_gt_i64_e32 vcc, s[12:13], v[18:19]
	s_and_saveexec_b64 s[4:5], vcc
	s_cbranch_execz .LBB28_125
; %bb.102:
	v_mad_u64_u32 v[10:11], s[6:7], v18, s18, 0
	v_mov_b32_e32 v12, v11
	v_mad_u64_u32 v[12:13], s[6:7], v18, s19, v[12:13]
	v_mov_b32_e32 v11, v12
	v_lshlrev_b64 v[10:11], 2, v[10:11]
	v_add_co_u32_e32 v10, vcc, v22, v10
	v_addc_co_u32_e32 v11, vcc, v23, v11, vcc
	v_mov_b32_e32 v12, s17
	v_add_co_u32_e32 v14, vcc, s16, v8
	v_addc_co_u32_e32 v15, vcc, v12, v9, vcc
	v_cmp_gt_i64_e32 vcc, s[14:15], v[16:17]
	s_and_saveexec_b64 s[6:7], vcc
	s_cbranch_execz .LBB28_106
; %bb.103:
	s_andn2_b64 vcc, exec, s[2:3]
	v_pk_mov_b32 v[8:9], v[10:11], v[10:11] op_sel:[0,1]
	s_cbranch_vccnz .LBB28_105
; %bb.104:
	v_mul_lo_u32 v12, v17, s18
	v_mul_lo_u32 v13, v16, s19
	v_mad_u64_u32 v[8:9], s[2:3], v16, s18, 0
	v_add3_u32 v9, v9, v13, v12
	v_lshlrev_b64 v[8:9], 2, v[8:9]
	v_add_co_u32_e32 v8, vcc, v14, v8
	v_addc_co_u32_e32 v9, vcc, v15, v9, vcc
	v_add_co_u32_e32 v8, vcc, 0x300, v8
	v_addc_co_u32_e32 v9, vcc, 0, v9, vcc
.LBB28_105:
	global_load_dword v8, v[8:9], off
	s_waitcnt vmcnt(0)
	v_cmp_neq_f32_e32 vcc, 0, v8
	v_cndmask_b32_e64 v8, 0, 1, vcc
	v_add_co_u32_e32 v6, vcc, v6, v8
	v_addc_co_u32_e32 v7, vcc, 0, v7, vcc
.LBB28_106:
	s_or_b64 exec, exec, s[6:7]
	v_or_b32_e32 v8, 1, v16
	v_mov_b32_e32 v9, v17
	v_cndmask_b32_e64 v12, 0, 1, s[0:1]
	v_cmp_gt_i64_e32 vcc, s[14:15], v[8:9]
	v_cmp_ne_u32_e64 s[0:1], 1, v12
	s_and_saveexec_b64 s[2:3], vcc
	s_cbranch_execz .LBB28_112
; %bb.107:
	s_and_b64 vcc, exec, s[0:1]
	s_cbranch_vccnz .LBB28_109
; %bb.108:
	v_add_co_u32_e32 v12, vcc, 4, v10
	v_addc_co_u32_e32 v13, vcc, 0, v11, vcc
	s_cbranch_execz .LBB28_110
	s_branch .LBB28_111
.LBB28_109:
                                        ; implicit-def: $vgpr12_vgpr13
.LBB28_110:
	v_mul_lo_u32 v12, v9, s18
	v_mul_lo_u32 v13, v8, s19
	v_mad_u64_u32 v[8:9], s[6:7], v8, s18, 0
	v_add3_u32 v9, v9, v13, v12
	v_lshlrev_b64 v[8:9], 2, v[8:9]
	v_add_co_u32_e32 v8, vcc, v14, v8
	v_addc_co_u32_e32 v9, vcc, v15, v9, vcc
	v_add_co_u32_e32 v12, vcc, 0x300, v8
	v_addc_co_u32_e32 v13, vcc, 0, v9, vcc
.LBB28_111:
	global_load_dword v8, v[12:13], off
	s_waitcnt vmcnt(0)
	v_cmp_neq_f32_e32 vcc, 0, v8
	v_cndmask_b32_e64 v8, 0, 1, vcc
	v_add_co_u32_e32 v6, vcc, v6, v8
	v_addc_co_u32_e32 v7, vcc, 0, v7, vcc
.LBB28_112:
	s_or_b64 exec, exec, s[2:3]
	v_or_b32_e32 v8, 2, v16
	v_mov_b32_e32 v9, v17
	v_cmp_gt_i64_e32 vcc, s[14:15], v[8:9]
	s_and_saveexec_b64 s[2:3], vcc
	s_cbranch_execz .LBB28_118
; %bb.113:
	s_and_b64 vcc, exec, s[0:1]
	s_cbranch_vccnz .LBB28_115
; %bb.114:
	v_add_co_u32_e32 v12, vcc, 8, v10
	v_addc_co_u32_e32 v13, vcc, 0, v11, vcc
	s_cbranch_execz .LBB28_116
	s_branch .LBB28_117
.LBB28_115:
                                        ; implicit-def: $vgpr12_vgpr13
.LBB28_116:
	v_mul_lo_u32 v12, v9, s18
	v_mul_lo_u32 v13, v8, s19
	v_mad_u64_u32 v[8:9], s[6:7], v8, s18, 0
	v_add3_u32 v9, v9, v13, v12
	v_lshlrev_b64 v[8:9], 2, v[8:9]
	v_add_co_u32_e32 v8, vcc, v14, v8
	v_addc_co_u32_e32 v9, vcc, v15, v9, vcc
	v_add_co_u32_e32 v12, vcc, 0x300, v8
	v_addc_co_u32_e32 v13, vcc, 0, v9, vcc
.LBB28_117:
	global_load_dword v8, v[12:13], off
	s_waitcnt vmcnt(0)
	v_cmp_neq_f32_e32 vcc, 0, v8
	v_cndmask_b32_e64 v8, 0, 1, vcc
	v_add_co_u32_e32 v6, vcc, v6, v8
	v_addc_co_u32_e32 v7, vcc, 0, v7, vcc
.LBB28_118:
	s_or_b64 exec, exec, s[2:3]
	v_or_b32_e32 v16, 3, v16
	v_cmp_gt_i64_e32 vcc, s[14:15], v[16:17]
	s_and_saveexec_b64 s[2:3], vcc
	s_cbranch_execz .LBB28_124
; %bb.119:
	s_and_b64 vcc, exec, s[0:1]
	s_cbranch_vccnz .LBB28_121
; %bb.120:
	v_add_co_u32_e32 v8, vcc, 12, v10
	v_addc_co_u32_e32 v9, vcc, 0, v11, vcc
	s_cbranch_execz .LBB28_122
	s_branch .LBB28_123
.LBB28_121:
                                        ; implicit-def: $vgpr8_vgpr9
.LBB28_122:
	v_mul_lo_u32 v10, v17, s18
	v_mul_lo_u32 v11, v16, s19
	v_mad_u64_u32 v[8:9], s[0:1], v16, s18, 0
	v_add3_u32 v9, v9, v11, v10
	v_lshlrev_b64 v[8:9], 2, v[8:9]
	v_add_co_u32_e32 v8, vcc, v14, v8
	v_addc_co_u32_e32 v9, vcc, v15, v9, vcc
	v_add_co_u32_e32 v8, vcc, 0x300, v8
	v_addc_co_u32_e32 v9, vcc, 0, v9, vcc
.LBB28_123:
	global_load_dword v8, v[8:9], off
	s_waitcnt vmcnt(0)
	v_cmp_neq_f32_e32 vcc, 0, v8
	v_cndmask_b32_e64 v8, 0, 1, vcc
	v_add_co_u32_e32 v6, vcc, v6, v8
	v_addc_co_u32_e32 v7, vcc, 0, v7, vcc
.LBB28_124:
	s_or_b64 exec, exec, s[2:3]
.LBB28_125:
	s_or_b64 exec, exec, s[4:5]
.LBB28_126:
	v_lshlrev_b32_e32 v8, 2, v37
	s_mov_b32 s0, 0x1fffff00
	v_and_or_b32 v8, v8, s0, v38
	s_movk_i32 s0, 0x100
	v_lshlrev_b32_e32 v8, 3, v8
	v_cmp_gt_u32_e32 vcc, s0, v37
	ds_write2st64_b64 v8, v[0:1], v[2:3] offset1:1
	ds_write2st64_b64 v8, v[4:5], v[6:7] offset0:2 offset1:3
	s_waitcnt lgkmcnt(0)
	s_barrier
	s_and_saveexec_b64 s[0:1], vcc
	s_cbranch_execz .LBB28_129
; %bb.127:
	v_lshlrev_b32_e32 v10, 3, v37
	ds_read2st64_b64 v[2:5], v10 offset1:4
	ds_read2st64_b64 v[6:9], v10 offset0:8 offset1:12
	v_add_co_u32_e32 v0, vcc, s33, v37
	v_addc_co_u32_e64 v1, s[0:1], 0, 0, vcc
	s_waitcnt lgkmcnt(1)
	v_add_co_u32_e32 v2, vcc, v2, v4
	v_addc_co_u32_e32 v3, vcc, v3, v5, vcc
	s_waitcnt lgkmcnt(0)
	v_add_co_u32_e32 v6, vcc, v2, v6
	v_addc_co_u32_e32 v7, vcc, v3, v7, vcc
	ds_read2st64_b64 v[2:5], v10 offset0:16 offset1:20
	v_add_co_u32_e32 v6, vcc, v6, v8
	v_addc_co_u32_e32 v7, vcc, v7, v9, vcc
	s_waitcnt lgkmcnt(0)
	v_add_co_u32_e32 v2, vcc, v6, v2
	v_addc_co_u32_e32 v3, vcc, v7, v3, vcc
	ds_read2st64_b64 v[6:9], v10 offset0:24 offset1:28
	;; [unrolled: 6-line block ×6, first 2 shown]
	v_add_co_u32_e32 v2, vcc, v2, v4
	v_addc_co_u32_e32 v3, vcc, v3, v5, vcc
	s_waitcnt lgkmcnt(0)
	v_add_co_u32_e32 v2, vcc, v2, v6
	v_addc_co_u32_e32 v3, vcc, v3, v7, vcc
	v_add_co_u32_e32 v2, vcc, v2, v8
	v_addc_co_u32_e32 v3, vcc, v3, v9, vcc
	v_cmp_gt_i64_e32 vcc, s[12:13], v[0:1]
	ds_write_b64 v10, v[2:3]
	s_and_b64 exec, exec, vcc
	s_cbranch_execz .LBB28_129
; %bb.128:
	v_lshlrev_b64 v[0:1], 3, v[0:1]
	v_mov_b32_e32 v4, s11
	v_add_co_u32_e32 v0, vcc, s10, v0
	v_addc_co_u32_e32 v1, vcc, v4, v1, vcc
	global_store_dwordx2 v[0:1], v[2:3], off
.LBB28_129:
	s_endpgm
	.section	.rodata,"a",@progbits
	.p2align	6, 0x0
	.amdhsa_kernel _ZN9rocsparseL14nnz_kernel_rowILi64ELi16EllfEEv16rocsparse_order_T2_S2_PKT3_lPT1_
		.amdhsa_group_segment_fixed_size 32768
		.amdhsa_private_segment_fixed_size 0
		.amdhsa_kernarg_size 304
		.amdhsa_user_sgpr_count 6
		.amdhsa_user_sgpr_private_segment_buffer 1
		.amdhsa_user_sgpr_dispatch_ptr 0
		.amdhsa_user_sgpr_queue_ptr 0
		.amdhsa_user_sgpr_kernarg_segment_ptr 1
		.amdhsa_user_sgpr_dispatch_id 0
		.amdhsa_user_sgpr_flat_scratch_init 0
		.amdhsa_user_sgpr_kernarg_preload_length 0
		.amdhsa_user_sgpr_kernarg_preload_offset 0
		.amdhsa_user_sgpr_private_segment_size 0
		.amdhsa_uses_dynamic_stack 0
		.amdhsa_system_sgpr_private_segment_wavefront_offset 0
		.amdhsa_system_sgpr_workgroup_id_x 1
		.amdhsa_system_sgpr_workgroup_id_y 0
		.amdhsa_system_sgpr_workgroup_id_z 0
		.amdhsa_system_sgpr_workgroup_info 0
		.amdhsa_system_vgpr_workitem_id 1
		.amdhsa_next_free_vgpr 44
		.amdhsa_next_free_sgpr 43
		.amdhsa_accum_offset 44
		.amdhsa_reserve_vcc 1
		.amdhsa_reserve_flat_scratch 0
		.amdhsa_float_round_mode_32 0
		.amdhsa_float_round_mode_16_64 0
		.amdhsa_float_denorm_mode_32 3
		.amdhsa_float_denorm_mode_16_64 3
		.amdhsa_dx10_clamp 1
		.amdhsa_ieee_mode 1
		.amdhsa_fp16_overflow 0
		.amdhsa_tg_split 0
		.amdhsa_exception_fp_ieee_invalid_op 0
		.amdhsa_exception_fp_denorm_src 0
		.amdhsa_exception_fp_ieee_div_zero 0
		.amdhsa_exception_fp_ieee_overflow 0
		.amdhsa_exception_fp_ieee_underflow 0
		.amdhsa_exception_fp_ieee_inexact 0
		.amdhsa_exception_int_div_zero 0
	.end_amdhsa_kernel
	.section	.text._ZN9rocsparseL14nnz_kernel_rowILi64ELi16EllfEEv16rocsparse_order_T2_S2_PKT3_lPT1_,"axG",@progbits,_ZN9rocsparseL14nnz_kernel_rowILi64ELi16EllfEEv16rocsparse_order_T2_S2_PKT3_lPT1_,comdat
.Lfunc_end28:
	.size	_ZN9rocsparseL14nnz_kernel_rowILi64ELi16EllfEEv16rocsparse_order_T2_S2_PKT3_lPT1_, .Lfunc_end28-_ZN9rocsparseL14nnz_kernel_rowILi64ELi16EllfEEv16rocsparse_order_T2_S2_PKT3_lPT1_
                                        ; -- End function
	.section	.AMDGPU.csdata,"",@progbits
; Kernel info:
; codeLenInByte = 5252
; NumSgprs: 47
; NumVgprs: 44
; NumAgprs: 0
; TotalNumVgprs: 44
; ScratchSize: 0
; MemoryBound: 0
; FloatMode: 240
; IeeeMode: 1
; LDSByteSize: 32768 bytes/workgroup (compile time only)
; SGPRBlocks: 5
; VGPRBlocks: 5
; NumSGPRsForWavesPerEU: 47
; NumVGPRsForWavesPerEU: 44
; AccumOffset: 44
; Occupancy: 8
; WaveLimiterHint : 0
; COMPUTE_PGM_RSRC2:SCRATCH_EN: 0
; COMPUTE_PGM_RSRC2:USER_SGPR: 6
; COMPUTE_PGM_RSRC2:TRAP_HANDLER: 0
; COMPUTE_PGM_RSRC2:TGID_X_EN: 1
; COMPUTE_PGM_RSRC2:TGID_Y_EN: 0
; COMPUTE_PGM_RSRC2:TGID_Z_EN: 0
; COMPUTE_PGM_RSRC2:TIDIG_COMP_CNT: 1
; COMPUTE_PGM_RSRC3_GFX90A:ACCUM_OFFSET: 10
; COMPUTE_PGM_RSRC3_GFX90A:TG_SPLIT: 0
	.section	.text._ZN9rocsparseL14nnz_kernel_colILi256EllfEEv16rocsparse_order_T1_S2_PKT2_lPT0_,"axG",@progbits,_ZN9rocsparseL14nnz_kernel_colILi256EllfEEv16rocsparse_order_T1_S2_PKT2_lPT0_,comdat
	.globl	_ZN9rocsparseL14nnz_kernel_colILi256EllfEEv16rocsparse_order_T1_S2_PKT2_lPT0_ ; -- Begin function _ZN9rocsparseL14nnz_kernel_colILi256EllfEEv16rocsparse_order_T1_S2_PKT2_lPT0_
	.p2align	8
	.type	_ZN9rocsparseL14nnz_kernel_colILi256EllfEEv16rocsparse_order_T1_S2_PKT2_lPT0_,@function
_ZN9rocsparseL14nnz_kernel_colILi256EllfEEv16rocsparse_order_T1_S2_PKT2_lPT0_: ; @_ZN9rocsparseL14nnz_kernel_colILi256EllfEEv16rocsparse_order_T1_S2_PKT2_lPT0_
; %bb.0:
	s_load_dwordx2 s[8:9], s[4:5], 0x8
	s_load_dword s12, s[4:5], 0x0
	s_load_dwordx4 s[0:3], s[4:5], 0x18
	s_mov_b32 s7, 0
	v_mov_b32_e32 v1, 0
	s_waitcnt lgkmcnt(0)
	s_ashr_i32 s10, s9, 31
	s_lshr_b32 s10, s10, 24
	s_add_u32 s10, s8, s10
	s_addc_u32 s11, s9, 0
	s_and_b32 s10, s10, 0xffffff00
	s_cmp_eq_u32 s12, 1
	s_cbranch_scc1 .LBB29_6
; %bb.1:
	v_mov_b32_e32 v2, 0x100
	v_mov_b32_e32 v3, 0
	v_cmp_lt_i64_e32 vcc, s[8:9], v[2:3]
	v_pk_mov_b32 v[2:3], 0, 0
	s_cbranch_vccnz .LBB29_7
; %bb.2:
	v_mad_u64_u32 v[2:3], s[12:13], s2, v0, 0
	v_mov_b32_e32 v4, v3
	v_mad_u64_u32 v[4:5], s[12:13], s3, v0, v[4:5]
	s_lshl_b64 s[12:13], s[6:7], 2
	v_mov_b32_e32 v3, v4
	s_add_u32 s12, s0, s12
	v_lshlrev_b64 v[2:3], 2, v[2:3]
	s_addc_u32 s13, s1, s13
	v_mov_b32_e32 v5, s13
	v_add_co_u32_e32 v4, vcc, s12, v2
	s_lshl_b64 s[12:13], s[2:3], 10
	v_addc_co_u32_e32 v5, vcc, v5, v3, vcc
	s_mov_b64 s[14:15], 0
	v_pk_mov_b32 v[2:3], 0, 0
	v_mov_b32_e32 v8, s13
	v_pk_mov_b32 v[6:7], s[10:11], s[10:11] op_sel:[0,1]
	s_branch .LBB29_4
.LBB29_3:                               ;   in Loop: Header=BB29_4 Depth=1
	s_or_b64 exec, exec, s[16:17]
	s_add_u32 s14, s14, 0x100
	v_add_co_u32_e32 v4, vcc, s12, v4
	s_addc_u32 s15, s15, 0
	v_addc_co_u32_e32 v5, vcc, v5, v8, vcc
	v_cmp_ge_i64_e32 vcc, s[14:15], v[6:7]
	s_cbranch_vccnz .LBB29_7
.LBB29_4:                               ; =>This Inner Loop Header: Depth=1
	v_mov_b32_e32 v9, s15
	v_add_co_u32_e32 v10, vcc, s14, v0
	v_addc_co_u32_e32 v11, vcc, 0, v9, vcc
	v_cmp_gt_i64_e32 vcc, s[8:9], v[10:11]
	s_and_saveexec_b64 s[16:17], vcc
	s_cbranch_execz .LBB29_3
; %bb.5:                                ;   in Loop: Header=BB29_4 Depth=1
	global_load_dword v9, v[4:5], off
	s_waitcnt vmcnt(0)
	v_cmp_neq_f32_e32 vcc, 0, v9
	v_cndmask_b32_e64 v9, 0, 1, vcc
	v_add_co_u32_e32 v2, vcc, v2, v9
	v_addc_co_u32_e32 v3, vcc, 0, v3, vcc
	s_branch .LBB29_3
.LBB29_6:
	s_mov_b64 s[12:13], 0
                                        ; implicit-def: $vgpr2_vgpr3
                                        ; implicit-def: $vgpr4_vgpr5
	s_cbranch_execnz .LBB29_10
	s_branch .LBB29_16
.LBB29_7:
	v_mov_b32_e32 v4, s11
	v_add_co_u32_e32 v6, vcc, s10, v0
	v_addc_co_u32_e32 v7, vcc, 0, v4, vcc
	v_cmp_gt_i64_e32 vcc, s[8:9], v[6:7]
	s_mov_b64 s[14:15], 0
	s_mov_b64 s[12:13], 0
                                        ; implicit-def: $vgpr4_vgpr5
	s_and_saveexec_b64 s[16:17], vcc
	s_xor_b64 s[16:17], exec, s[16:17]
	s_cbranch_execz .LBB29_9
; %bb.8:
	v_mad_u64_u32 v[4:5], s[18:19], v6, s2, 0
	v_mul_lo_u32 v7, v7, s2
	v_mul_lo_u32 v8, v6, s3
	s_lshl_b64 s[18:19], s[6:7], 2
	v_add3_u32 v5, v5, v8, v7
	s_add_u32 s18, s18, s0
	v_lshlrev_b64 v[4:5], 2, v[4:5]
	s_addc_u32 s19, s19, s1
	v_mov_b32_e32 v6, s19
	v_add_co_u32_e32 v4, vcc, s18, v4
	s_mov_b64 s[12:13], exec
	v_addc_co_u32_e32 v5, vcc, v6, v5, vcc
.LBB29_9:
	s_or_b64 exec, exec, s[16:17]
	s_and_b64 vcc, exec, s[14:15]
	s_cbranch_vccz .LBB29_16
.LBB29_10:
	s_mul_i32 s3, s6, s3
	s_mul_hi_u32 s14, s6, s2
	s_add_i32 s3, s14, s3
	s_mul_i32 s2, s6, s2
	s_lshl_b64 s[2:3], s[2:3], 2
	v_cmp_gt_i64_e32 vcc, s[8:9], v[0:1]
	s_add_u32 s0, s0, s2
	v_cndmask_b32_e32 v1, 0, v0, vcc
	s_addc_u32 s1, s1, s3
	v_lshlrev_b32_e32 v1, 2, v1
	v_mov_b32_e32 v2, s1
	v_add_co_u32_e32 v6, vcc, s0, v1
	v_addc_co_u32_e32 v7, vcc, 0, v2, vcc
	v_mov_b32_e32 v2, 0x100
	v_mov_b32_e32 v3, 0
	v_cmp_lt_i64_e32 vcc, s[8:9], v[2:3]
	v_pk_mov_b32 v[2:3], 0, 0
	s_cbranch_vccnz .LBB29_13
; %bb.11:
	s_mov_b64 s[2:3], 0
	v_pk_mov_b32 v[2:3], 0, 0
	v_pk_mov_b32 v[4:5], s[10:11], s[10:11] op_sel:[0,1]
	v_pk_mov_b32 v[8:9], v[6:7], v[6:7] op_sel:[0,1]
.LBB29_12:                              ; =>This Inner Loop Header: Depth=1
	global_load_dword v1, v[8:9], off
	s_add_u32 s2, s2, 0x100
	v_add_co_u32_e32 v8, vcc, 0x400, v8
	s_addc_u32 s3, s3, 0
	v_addc_co_u32_e32 v9, vcc, 0, v9, vcc
	v_cmp_ge_i64_e32 vcc, s[2:3], v[4:5]
	s_and_b64 vcc, exec, vcc
	s_waitcnt vmcnt(0)
	v_cmp_neq_f32_e64 s[0:1], 0, v1
	v_cndmask_b32_e64 v1, 0, 1, s[0:1]
	v_add_co_u32_e64 v2, s[0:1], v2, v1
	v_addc_co_u32_e64 v3, s[0:1], 0, v3, s[0:1]
	s_cbranch_vccz .LBB29_12
.LBB29_13:
	v_mov_b32_e32 v1, s11
	v_add_co_u32_e32 v4, vcc, s10, v0
	v_addc_co_u32_e32 v5, vcc, 0, v1, vcc
	v_cmp_gt_i64_e32 vcc, s[8:9], v[4:5]
                                        ; implicit-def: $vgpr4_vgpr5
	s_and_saveexec_b64 s[0:1], vcc
; %bb.14:
	s_lshl_b64 s[2:3], s[10:11], 2
	v_mov_b32_e32 v1, s3
	v_add_co_u32_e32 v4, vcc, s2, v6
	v_addc_co_u32_e32 v5, vcc, v7, v1, vcc
	s_or_b64 s[12:13], s[12:13], exec
; %bb.15:
	s_or_b64 exec, exec, s[0:1]
.LBB29_16:
	s_and_saveexec_b64 s[0:1], s[12:13]
	s_cbranch_execz .LBB29_18
; %bb.17:
	global_load_dword v1, v[4:5], off
	s_waitcnt vmcnt(0)
	v_cmp_neq_f32_e32 vcc, 0, v1
	v_cndmask_b32_e64 v1, 0, 1, vcc
	v_add_co_u32_e32 v2, vcc, v2, v1
	v_addc_co_u32_e32 v3, vcc, 0, v3, vcc
.LBB29_18:
	s_or_b64 exec, exec, s[0:1]
	v_lshlrev_b32_e32 v1, 3, v0
	ds_write_b64 v1, v[2:3]
	v_mov_b32_e32 v2, 0x100
	v_mov_b32_e32 v3, 0
	v_cmp_lt_i64_e32 vcc, s[8:9], v[2:3]
	s_mov_b64 s[2:3], -1
	v_cmp_eq_u32_e64 s[0:1], 0, v0
	s_waitcnt lgkmcnt(0)
	s_cbranch_vccnz .LBB29_22
; %bb.19:
	s_and_b64 vcc, exec, s[2:3]
	s_cbranch_vccnz .LBB29_31
.LBB29_20:
	v_cmp_eq_u32_e32 vcc, 0, v0
	s_and_saveexec_b64 s[0:1], vcc
	s_cbranch_execnz .LBB29_48
.LBB29_21:
	s_endpgm
.LBB29_22:
	v_cmp_gt_i64_e64 s[2:3], s[8:9], 1
	s_mov_b64 s[10:11], 1
	s_and_b64 s[2:3], s[0:1], s[2:3]
	s_barrier
	s_and_saveexec_b64 s[0:1], s[2:3]
	s_cbranch_execz .LBB29_30
; %bb.23:
	v_mov_b32_e32 v2, 0
	s_add_u32 s11, s8, -1
	ds_read_b64 v[2:3], v2
	s_addc_u32 s3, s9, -1
	s_add_u32 s8, s8, -2
	s_addc_u32 s9, s9, -1
	v_cmp_lt_u64_e64 s[8:9], s[8:9], 7
	s_and_b64 vcc, exec, s[8:9]
	s_cbranch_vccnz .LBB29_26
; %bb.24:
	s_and_b32 s2, s11, -8
	s_mov_b64 s[8:9], 0
	s_mov_b32 s12, 8
.LBB29_25:                              ; =>This Inner Loop Header: Depth=1
	v_mov_b32_e32 v16, s12
	ds_read2_b64 v[4:7], v16 offset1:1
	ds_read2_b64 v[8:11], v16 offset0:2 offset1:3
	ds_read2_b64 v[12:15], v16 offset0:4 offset1:5
	;; [unrolled: 1-line block ×3, first 2 shown]
	s_add_u32 s14, s8, 8
	s_waitcnt lgkmcnt(3)
	v_add_co_u32_e32 v2, vcc, v2, v4
	v_addc_co_u32_e32 v3, vcc, v3, v5, vcc
	v_add_co_u32_e32 v2, vcc, v2, v6
	v_addc_co_u32_e32 v3, vcc, v3, v7, vcc
	s_waitcnt lgkmcnt(2)
	v_add_co_u32_e32 v2, vcc, v2, v8
	v_addc_co_u32_e32 v3, vcc, v3, v9, vcc
	v_add_co_u32_e32 v2, vcc, v2, v10
	v_addc_co_u32_e32 v3, vcc, v3, v11, vcc
	;; [unrolled: 5-line block ×3, first 2 shown]
	s_waitcnt lgkmcnt(0)
	v_add_co_u32_e32 v2, vcc, v2, v16
	v_addc_co_u32_e32 v3, vcc, v3, v17, vcc
	s_addc_u32 s15, s9, 0
	s_add_i32 s12, s12, 64
	s_add_u32 s10, s8, 9
	v_add_co_u32_e32 v2, vcc, v2, v18
	s_cmp_lg_u64 s[2:3], s[14:15]
	s_mov_b64 s[8:9], s[14:15]
	v_addc_co_u32_e32 v3, vcc, v3, v19, vcc
	s_cbranch_scc1 .LBB29_25
.LBB29_26:
	s_and_b32 s2, s11, 7
	s_mov_b32 s3, 0
	s_cmp_eq_u64 s[2:3], 0
	s_cbranch_scc1 .LBB29_29
; %bb.27:
	s_lshl_b32 s8, s10, 3
.LBB29_28:                              ; =>This Inner Loop Header: Depth=1
	v_mov_b32_e32 v4, s8
	ds_read_b64 v[4:5], v4
	s_add_i32 s8, s8, 8
	s_add_u32 s2, s2, -1
	s_addc_u32 s3, s3, -1
	s_cmp_lg_u64 s[2:3], 0
	s_waitcnt lgkmcnt(0)
	v_add_co_u32_e32 v2, vcc, v2, v4
	v_addc_co_u32_e32 v3, vcc, v3, v5, vcc
	s_cbranch_scc1 .LBB29_28
.LBB29_29:
	v_mov_b32_e32 v4, 0
	s_waitcnt lgkmcnt(0)
	ds_write_b64 v4, v[2:3]
.LBB29_30:
	s_or_b64 exec, exec, s[0:1]
	s_waitcnt lgkmcnt(0)
	s_barrier
	s_branch .LBB29_20
.LBB29_31:
	s_movk_i32 s0, 0x80
	v_cmp_gt_u32_e32 vcc, s0, v0
	s_barrier
	s_and_saveexec_b64 s[0:1], vcc
	s_cbranch_execz .LBB29_33
; %bb.32:
	ds_read2st64_b64 v[2:5], v1 offset1:2
	s_waitcnt lgkmcnt(0)
	v_add_co_u32_e32 v2, vcc, v2, v4
	v_addc_co_u32_e32 v3, vcc, v3, v5, vcc
	ds_write_b64 v1, v[2:3]
.LBB29_33:
	s_or_b64 exec, exec, s[0:1]
	v_cmp_gt_u32_e32 vcc, 64, v0
	s_waitcnt lgkmcnt(0)
	s_barrier
	s_and_saveexec_b64 s[0:1], vcc
	s_cbranch_execz .LBB29_35
; %bb.34:
	ds_read2st64_b64 v[2:5], v1 offset1:1
	s_waitcnt lgkmcnt(0)
	v_add_co_u32_e32 v2, vcc, v2, v4
	v_addc_co_u32_e32 v3, vcc, v3, v5, vcc
	ds_write_b64 v1, v[2:3]
.LBB29_35:
	s_or_b64 exec, exec, s[0:1]
	v_cmp_gt_u32_e32 vcc, 32, v0
	s_waitcnt lgkmcnt(0)
	s_barrier
	s_and_saveexec_b64 s[0:1], vcc
	s_cbranch_execz .LBB29_37
; %bb.36:
	ds_read2_b64 v[2:5], v1 offset1:32
	s_waitcnt lgkmcnt(0)
	v_add_co_u32_e32 v2, vcc, v2, v4
	v_addc_co_u32_e32 v3, vcc, v3, v5, vcc
	ds_write_b64 v1, v[2:3]
.LBB29_37:
	s_or_b64 exec, exec, s[0:1]
	v_cmp_gt_u32_e32 vcc, 16, v0
	s_waitcnt lgkmcnt(0)
	s_barrier
	s_and_saveexec_b64 s[0:1], vcc
	s_cbranch_execz .LBB29_39
; %bb.38:
	ds_read2_b64 v[2:5], v1 offset1:16
	s_waitcnt lgkmcnt(0)
	v_add_co_u32_e32 v2, vcc, v2, v4
	v_addc_co_u32_e32 v3, vcc, v3, v5, vcc
	ds_write_b64 v1, v[2:3]
.LBB29_39:
	;; [unrolled: 13-line block ×5, first 2 shown]
	s_or_b64 exec, exec, s[0:1]
	v_cmp_eq_u32_e32 vcc, 0, v0
	s_waitcnt lgkmcnt(0)
	s_barrier
	s_and_saveexec_b64 s[0:1], vcc
	s_cbranch_execz .LBB29_47
; %bb.46:
	v_mov_b32_e32 v1, 0
	ds_read_b128 v[2:5], v1
	s_waitcnt lgkmcnt(0)
	v_add_co_u32_e32 v2, vcc, v2, v4
	v_addc_co_u32_e32 v3, vcc, v3, v5, vcc
	ds_write_b64 v1, v[2:3]
.LBB29_47:
	s_or_b64 exec, exec, s[0:1]
	s_waitcnt lgkmcnt(0)
	s_barrier
	v_cmp_eq_u32_e32 vcc, 0, v0
	s_and_saveexec_b64 s[0:1], vcc
	s_cbranch_execz .LBB29_21
.LBB29_48:
	s_load_dwordx2 s[0:1], s[4:5], 0x28
	v_mov_b32_e32 v2, 0
	ds_read_b64 v[0:1], v2
	s_lshl_b64 s[2:3], s[6:7], 3
	s_waitcnt lgkmcnt(0)
	s_add_u32 s0, s0, s2
	s_addc_u32 s1, s1, s3
	global_store_dwordx2 v2, v[0:1], s[0:1]
	s_endpgm
	.section	.rodata,"a",@progbits
	.p2align	6, 0x0
	.amdhsa_kernel _ZN9rocsparseL14nnz_kernel_colILi256EllfEEv16rocsparse_order_T1_S2_PKT2_lPT0_
		.amdhsa_group_segment_fixed_size 2048
		.amdhsa_private_segment_fixed_size 0
		.amdhsa_kernarg_size 48
		.amdhsa_user_sgpr_count 6
		.amdhsa_user_sgpr_private_segment_buffer 1
		.amdhsa_user_sgpr_dispatch_ptr 0
		.amdhsa_user_sgpr_queue_ptr 0
		.amdhsa_user_sgpr_kernarg_segment_ptr 1
		.amdhsa_user_sgpr_dispatch_id 0
		.amdhsa_user_sgpr_flat_scratch_init 0
		.amdhsa_user_sgpr_kernarg_preload_length 0
		.amdhsa_user_sgpr_kernarg_preload_offset 0
		.amdhsa_user_sgpr_private_segment_size 0
		.amdhsa_uses_dynamic_stack 0
		.amdhsa_system_sgpr_private_segment_wavefront_offset 0
		.amdhsa_system_sgpr_workgroup_id_x 1
		.amdhsa_system_sgpr_workgroup_id_y 0
		.amdhsa_system_sgpr_workgroup_id_z 0
		.amdhsa_system_sgpr_workgroup_info 0
		.amdhsa_system_vgpr_workitem_id 0
		.amdhsa_next_free_vgpr 20
		.amdhsa_next_free_sgpr 20
		.amdhsa_accum_offset 20
		.amdhsa_reserve_vcc 1
		.amdhsa_reserve_flat_scratch 0
		.amdhsa_float_round_mode_32 0
		.amdhsa_float_round_mode_16_64 0
		.amdhsa_float_denorm_mode_32 3
		.amdhsa_float_denorm_mode_16_64 3
		.amdhsa_dx10_clamp 1
		.amdhsa_ieee_mode 1
		.amdhsa_fp16_overflow 0
		.amdhsa_tg_split 0
		.amdhsa_exception_fp_ieee_invalid_op 0
		.amdhsa_exception_fp_denorm_src 0
		.amdhsa_exception_fp_ieee_div_zero 0
		.amdhsa_exception_fp_ieee_overflow 0
		.amdhsa_exception_fp_ieee_underflow 0
		.amdhsa_exception_fp_ieee_inexact 0
		.amdhsa_exception_int_div_zero 0
	.end_amdhsa_kernel
	.section	.text._ZN9rocsparseL14nnz_kernel_colILi256EllfEEv16rocsparse_order_T1_S2_PKT2_lPT0_,"axG",@progbits,_ZN9rocsparseL14nnz_kernel_colILi256EllfEEv16rocsparse_order_T1_S2_PKT2_lPT0_,comdat
.Lfunc_end29:
	.size	_ZN9rocsparseL14nnz_kernel_colILi256EllfEEv16rocsparse_order_T1_S2_PKT2_lPT0_, .Lfunc_end29-_ZN9rocsparseL14nnz_kernel_colILi256EllfEEv16rocsparse_order_T1_S2_PKT2_lPT0_
                                        ; -- End function
	.section	.AMDGPU.csdata,"",@progbits
; Kernel info:
; codeLenInByte = 1564
; NumSgprs: 24
; NumVgprs: 20
; NumAgprs: 0
; TotalNumVgprs: 20
; ScratchSize: 0
; MemoryBound: 0
; FloatMode: 240
; IeeeMode: 1
; LDSByteSize: 2048 bytes/workgroup (compile time only)
; SGPRBlocks: 2
; VGPRBlocks: 2
; NumSGPRsForWavesPerEU: 24
; NumVGPRsForWavesPerEU: 20
; AccumOffset: 20
; Occupancy: 8
; WaveLimiterHint : 0
; COMPUTE_PGM_RSRC2:SCRATCH_EN: 0
; COMPUTE_PGM_RSRC2:USER_SGPR: 6
; COMPUTE_PGM_RSRC2:TRAP_HANDLER: 0
; COMPUTE_PGM_RSRC2:TGID_X_EN: 1
; COMPUTE_PGM_RSRC2:TGID_Y_EN: 0
; COMPUTE_PGM_RSRC2:TGID_Z_EN: 0
; COMPUTE_PGM_RSRC2:TIDIG_COMP_CNT: 0
; COMPUTE_PGM_RSRC3_GFX90A:ACCUM_OFFSET: 4
; COMPUTE_PGM_RSRC3_GFX90A:TG_SPLIT: 0
	.section	.text._ZN9rocsparseL14nnz_kernel_rowILi64ELi16ElldEEv16rocsparse_order_T2_S2_PKT3_lPT1_,"axG",@progbits,_ZN9rocsparseL14nnz_kernel_rowILi64ELi16ElldEEv16rocsparse_order_T2_S2_PKT3_lPT1_,comdat
	.globl	_ZN9rocsparseL14nnz_kernel_rowILi64ELi16ElldEEv16rocsparse_order_T2_S2_PKT3_lPT1_ ; -- Begin function _ZN9rocsparseL14nnz_kernel_rowILi64ELi16ElldEEv16rocsparse_order_T2_S2_PKT3_lPT1_
	.p2align	8
	.type	_ZN9rocsparseL14nnz_kernel_rowILi64ELi16ElldEEv16rocsparse_order_T2_S2_PKT3_lPT1_,@function
_ZN9rocsparseL14nnz_kernel_rowILi64ELi16ElldEEv16rocsparse_order_T2_S2_PKT3_lPT1_: ; @_ZN9rocsparseL14nnz_kernel_rowILi64ELi16ElldEEv16rocsparse_order_T2_S2_PKT3_lPT1_
; %bb.0:
	s_load_dword s0, s[4:5], 0x3c
	s_load_dwordx2 s[10:11], s[4:5], 0x28
	s_load_dword s42, s[4:5], 0x0
	s_load_dwordx8 s[12:19], s[4:5], 0x8
	v_and_b32_e32 v1, 0x3ff, v0
	s_waitcnt lgkmcnt(0)
	s_and_b32 s0, s0, 0xffff
	v_bfe_u32 v0, v0, 10, 10
	v_mad_u32_u24 v37, v0, s0, v1
	s_ashr_i32 s0, s15, 31
	s_lshl_b32 s33, s6, 8
	s_lshr_b32 s0, s0, 26
	s_mov_b32 s20, 0
	s_add_u32 s0, s14, s0
	v_mov_b32_e32 v19, 0
	v_and_b32_e32 v38, 63, v37
	s_addc_u32 s31, s15, 0
	s_and_b32 s30, s0, 0xffffffc0
	v_lshrrev_b32_e32 v0, 4, v37
	s_mov_b32 s21, s20
	v_or_b32_e32 v18, s33, v38
	s_sub_u32 s28, s14, s30
	v_and_b32_e32 v16, 0x7ffffc, v0
	v_mov_b32_e32 v17, v19
	s_mov_b32 s22, s20
	s_mov_b32 s23, s20
	;; [unrolled: 1-line block ×6, first 2 shown]
	v_pk_mov_b32 v[0:1], s[20:21], s[20:21] op_sel:[0,1]
	s_subb_u32 s29, s15, s31
	v_cmp_gt_i64_e32 vcc, s[30:31], v[16:17]
	v_pk_mov_b32 v[2:3], s[22:23], s[22:23] op_sel:[0,1]
	v_pk_mov_b32 v[4:5], s[24:25], s[24:25] op_sel:[0,1]
	;; [unrolled: 1-line block ×3, first 2 shown]
	v_or_b32_e32 v20, 64, v18
	s_and_saveexec_b64 s[34:35], vcc
	s_cbranch_execz .LBB30_28
; %bb.1:
	v_or_b32_e32 v0, 0x80, v18
	v_mov_b32_e32 v1, v19
	v_cmp_gt_i64_e64 s[4:5], s[12:13], v[0:1]
	v_or_b32_e32 v0, 0xc0, v18
	v_cmp_gt_i64_e64 s[6:7], s[12:13], v[0:1]
	v_add_co_u32_e32 v0, vcc, s33, v38
	v_addc_co_u32_e64 v1, s[8:9], 0, 0, vcc
	v_mul_lo_u32 v4, s19, v0
	v_mul_lo_u32 v5, s18, v1
	v_mad_u64_u32 v[2:3], s[8:9], s18, v0, 0
	v_add3_u32 v3, v3, v5, v4
	v_lshrrev_b32_e32 v5, 6, v37
	v_lshlrev_b64 v[2:3], 3, v[2:3]
	v_lshlrev_b32_e32 v4, 5, v5
	v_mov_b32_e32 v21, v19
	v_add_co_u32_e32 v22, vcc, v2, v4
	v_cmp_gt_i64_e64 s[2:3], s[12:13], v[20:21]
	v_addc_co_u32_e32 v21, vcc, 0, v3, vcc
	v_add_co_u32_e32 v2, vcc, 64, v0
	v_addc_co_u32_e32 v3, vcc, 0, v1, vcc
	v_mul_lo_u32 v6, s19, v2
	v_mul_lo_u32 v7, s18, v3
	v_mad_u64_u32 v[2:3], s[8:9], s18, v2, 0
	v_add3_u32 v3, v3, v7, v6
	v_lshlrev_b64 v[2:3], 3, v[2:3]
	v_add_co_u32_e32 v24, vcc, v2, v4
	s_movk_i32 s38, 0x80
	v_addc_co_u32_e32 v23, vcc, 0, v3, vcc
	v_add_co_u32_e32 v2, vcc, s38, v0
	v_addc_co_u32_e32 v3, vcc, 0, v1, vcc
	v_mul_lo_u32 v6, s19, v2
	v_mul_lo_u32 v7, s18, v3
	v_mad_u64_u32 v[2:3], s[8:9], s18, v2, 0
	v_add3_u32 v3, v3, v7, v6
	v_lshlrev_b64 v[2:3], 3, v[2:3]
	v_add_co_u32_e32 v26, vcc, v2, v4
	s_movk_i32 s39, 0xc0
	v_addc_co_u32_e32 v25, vcc, 0, v3, vcc
	v_add_co_u32_e32 v2, vcc, s39, v0
	v_addc_co_u32_e32 v3, vcc, 0, v1, vcc
	v_mul_lo_u32 v6, s19, v2
	v_mul_lo_u32 v7, s18, v3
	v_mad_u64_u32 v[2:3], s[8:9], s18, v2, 0
	v_add3_u32 v3, v3, v7, v6
	v_lshlrev_b64 v[2:3], 3, v[2:3]
	v_add_co_u32_e32 v28, vcc, v2, v4
	v_addc_co_u32_e32 v27, vcc, 0, v3, vcc
	v_or_b32_e32 v3, 24, v4
	v_lshlrev_b64 v[0:1], 3, v[0:1]
	v_mad_u64_u32 v[30:31], s[8:9], s18, v3, v[0:1]
	v_mov_b32_e32 v2, v31
	v_mad_u64_u32 v[2:3], s[8:9], s19, v3, v[2:3]
	v_or_b32_e32 v3, 16, v4
	v_mad_u64_u32 v[32:33], s[8:9], s18, v3, v[0:1]
	v_mov_b32_e32 v29, v2
	v_mov_b32_e32 v2, v33
	v_mad_u64_u32 v[2:3], s[8:9], s19, v3, v[2:3]
	v_or_b32_e32 v3, 8, v4
	v_mad_u64_u32 v[34:35], s[8:9], s18, v3, v[0:1]
	v_mov_b32_e32 v31, v2
	v_mov_b32_e32 v2, v35
	v_mad_u64_u32 v[2:3], s[8:9], s19, v3, v[2:3]
	v_mov_b32_e32 v33, v2
	v_mad_u64_u32 v[2:3], s[8:9], s18, v5, 0
	;; [unrolled: 2-line block ×3, first 2 shown]
	v_mov_b32_e32 v3, v4
	v_lshlrev_b64 v[2:3], 5, v[2:3]
	v_add_co_u32_e32 v36, vcc, v2, v0
	s_cmp_lg_u32 s42, 1
	v_addc_co_u32_e32 v35, vcc, v3, v1, vcc
	v_pk_mov_b32 v[0:1], s[20:21], s[20:21] op_sel:[0,1]
	s_cselect_b64 s[36:37], -1, 0
	v_cmp_gt_i64_e64 s[0:1], s[12:13], v[18:19]
	s_lshl_b64 s[38:39], s[18:19], 9
	s_mov_b64 s[40:41], 0
	v_pk_mov_b32 v[2:3], s[22:23], s[22:23] op_sel:[0,1]
	v_pk_mov_b32 v[4:5], s[24:25], s[24:25] op_sel:[0,1]
	;; [unrolled: 1-line block ×3, first 2 shown]
	s_branch .LBB30_4
.LBB30_2:                               ;   in Loop: Header=BB30_4 Depth=1
	v_pk_mov_b32 v[0:1], v[8:9], v[8:9] op_sel:[0,1]
	v_pk_mov_b32 v[2:3], v[10:11], v[10:11] op_sel:[0,1]
	;; [unrolled: 1-line block ×4, first 2 shown]
.LBB30_3:                               ;   in Loop: Header=BB30_4 Depth=1
	s_or_b64 exec, exec, s[20:21]
	v_add_co_u32_e32 v16, vcc, 64, v16
	v_addc_co_u32_e32 v17, vcc, 0, v17, vcc
	v_add_co_u32_e32 v22, vcc, 0x200, v22
	v_addc_co_u32_e32 v21, vcc, 0, v21, vcc
	;; [unrolled: 2-line block ×5, first 2 shown]
	v_mov_b32_e32 v8, s39
	v_add_co_u32_e32 v30, vcc, s38, v30
	v_addc_co_u32_e32 v29, vcc, v29, v8, vcc
	v_add_co_u32_e32 v32, vcc, s38, v32
	v_addc_co_u32_e32 v31, vcc, v31, v8, vcc
	;; [unrolled: 2-line block ×3, first 2 shown]
	v_cmp_le_i64_e32 vcc, s[30:31], v[16:17]
	s_or_b64 s[40:41], vcc, s[40:41]
	v_add_co_u32_e32 v36, vcc, s38, v36
	v_addc_co_u32_e32 v35, vcc, v35, v8, vcc
	s_andn2_b64 exec, exec, s[40:41]
	s_cbranch_execz .LBB30_27
.LBB30_4:                               ; =>This Inner Loop Header: Depth=1
	v_cndmask_b32_e64 v8, 0, 1, s[36:37]
	v_cmp_ne_u32_e64 s[8:9], 1, v8
	s_and_saveexec_b64 s[20:21], s[0:1]
	s_cbranch_execnz .LBB30_8
; %bb.5:                                ;   in Loop: Header=BB30_4 Depth=1
	s_or_b64 exec, exec, s[20:21]
	s_and_saveexec_b64 s[20:21], s[2:3]
	s_cbranch_execnz .LBB30_13
.LBB30_6:                               ;   in Loop: Header=BB30_4 Depth=1
	s_or_b64 exec, exec, s[20:21]
	s_and_saveexec_b64 s[20:21], s[4:5]
	s_cbranch_execnz .LBB30_18
.LBB30_7:                               ;   in Loop: Header=BB30_4 Depth=1
	s_or_b64 exec, exec, s[20:21]
	s_and_saveexec_b64 s[20:21], s[6:7]
	s_cbranch_execz .LBB30_3
	s_branch .LBB30_23
.LBB30_8:                               ;   in Loop: Header=BB30_4 Depth=1
	s_and_b64 vcc, exec, s[8:9]
	s_cbranch_vccnz .LBB30_10
; %bb.9:                                ;   in Loop: Header=BB30_4 Depth=1
	v_mov_b32_e32 v9, s17
	v_add_co_u32_e32 v8, vcc, s16, v22
	v_addc_co_u32_e32 v9, vcc, v9, v21, vcc
	global_load_dwordx4 v[40:43], v[8:9], off
	global_load_dwordx4 v[44:47], v[8:9], off offset:16
	v_add_co_u32_e32 v8, vcc, 1, v0
	v_addc_co_u32_e32 v9, vcc, 0, v1, vcc
	v_mov_b32_e32 v10, v2
	v_mov_b32_e32 v11, v3
	;; [unrolled: 1-line block ×6, first 2 shown]
	s_waitcnt vmcnt(1)
	v_cmp_neq_f64_e32 vcc, 0, v[40:41]
	v_cndmask_b32_e32 v8, v0, v8, vcc
	v_cndmask_b32_e32 v9, v1, v9, vcc
	v_add_co_u32_e32 v39, vcc, 1, v8
	v_addc_co_u32_e32 v40, vcc, 0, v9, vcc
	v_cmp_neq_f64_e32 vcc, 0, v[42:43]
	v_cndmask_b32_e32 v8, v8, v39, vcc
	v_cndmask_b32_e32 v9, v9, v40, vcc
	v_add_co_u32_e32 v39, vcc, 1, v8
	v_addc_co_u32_e32 v40, vcc, 0, v9, vcc
	s_waitcnt vmcnt(0)
	v_cmp_neq_f64_e32 vcc, 0, v[44:45]
	v_cndmask_b32_e32 v8, v8, v39, vcc
	v_cndmask_b32_e32 v9, v9, v40, vcc
	v_add_co_u32_e32 v39, vcc, 1, v8
	v_addc_co_u32_e32 v40, vcc, 0, v9, vcc
	v_cmp_neq_f64_e32 vcc, 0, v[46:47]
	v_cndmask_b32_e32 v9, v9, v40, vcc
	v_cndmask_b32_e32 v8, v8, v39, vcc
	s_cbranch_execz .LBB30_11
	s_branch .LBB30_12
.LBB30_10:                              ;   in Loop: Header=BB30_4 Depth=1
                                        ; implicit-def: $vgpr8_vgpr9_vgpr10_vgpr11_vgpr12_vgpr13_vgpr14_vgpr15
.LBB30_11:                              ;   in Loop: Header=BB30_4 Depth=1
	v_mov_b32_e32 v15, s17
	v_add_co_u32_e32 v8, vcc, s16, v36
	v_addc_co_u32_e32 v9, vcc, v15, v35, vcc
	global_load_dwordx2 v[8:9], v[8:9], off
	v_add_co_u32_e32 v10, vcc, s16, v34
	v_addc_co_u32_e32 v11, vcc, v15, v33, vcc
	global_load_dwordx2 v[10:11], v[10:11], off
	;; [unrolled: 3-line block ×4, first 2 shown]
	v_add_co_u32_e32 v39, vcc, 1, v0
	v_addc_co_u32_e32 v40, vcc, 0, v1, vcc
	s_waitcnt vmcnt(3)
	v_cmp_neq_f64_e32 vcc, 0, v[8:9]
	v_cndmask_b32_e32 v0, v0, v39, vcc
	v_cndmask_b32_e32 v1, v1, v40, vcc
	v_add_co_u32_e32 v8, vcc, 1, v0
	v_addc_co_u32_e32 v9, vcc, 0, v1, vcc
	s_waitcnt vmcnt(2)
	v_cmp_neq_f64_e32 vcc, 0, v[10:11]
	v_cndmask_b32_e32 v0, v0, v8, vcc
	v_cndmask_b32_e32 v1, v1, v9, vcc
	;; [unrolled: 6-line block ×4, first 2 shown]
	v_pk_mov_b32 v[14:15], v[6:7], v[6:7] op_sel:[0,1]
	v_pk_mov_b32 v[12:13], v[4:5], v[4:5] op_sel:[0,1]
	;; [unrolled: 1-line block ×4, first 2 shown]
.LBB30_12:                              ;   in Loop: Header=BB30_4 Depth=1
	v_pk_mov_b32 v[0:1], v[8:9], v[8:9] op_sel:[0,1]
	v_pk_mov_b32 v[2:3], v[10:11], v[10:11] op_sel:[0,1]
	;; [unrolled: 1-line block ×4, first 2 shown]
	s_or_b64 exec, exec, s[20:21]
	s_and_saveexec_b64 s[20:21], s[2:3]
	s_cbranch_execz .LBB30_6
.LBB30_13:                              ;   in Loop: Header=BB30_4 Depth=1
	s_and_b64 vcc, exec, s[8:9]
	s_cbranch_vccnz .LBB30_15
; %bb.14:                               ;   in Loop: Header=BB30_4 Depth=1
	v_mov_b32_e32 v9, s17
	v_add_co_u32_e32 v8, vcc, s16, v24
	v_addc_co_u32_e32 v9, vcc, v9, v23, vcc
	global_load_dwordx4 v[40:43], v[8:9], off
	global_load_dwordx4 v[44:47], v[8:9], off offset:16
	v_add_co_u32_e32 v10, vcc, 1, v2
	v_addc_co_u32_e32 v11, vcc, 0, v3, vcc
	v_mov_b32_e32 v8, v0
	v_mov_b32_e32 v9, v1
	v_mov_b32_e32 v12, v4
	v_mov_b32_e32 v13, v5
	v_mov_b32_e32 v14, v6
	v_mov_b32_e32 v15, v7
	s_waitcnt vmcnt(1)
	v_cmp_neq_f64_e32 vcc, 0, v[40:41]
	v_cndmask_b32_e32 v10, v2, v10, vcc
	v_cndmask_b32_e32 v11, v3, v11, vcc
	v_add_co_u32_e32 v39, vcc, 1, v10
	v_addc_co_u32_e32 v40, vcc, 0, v11, vcc
	v_cmp_neq_f64_e32 vcc, 0, v[42:43]
	v_cndmask_b32_e32 v10, v10, v39, vcc
	v_cndmask_b32_e32 v11, v11, v40, vcc
	v_add_co_u32_e32 v39, vcc, 1, v10
	v_addc_co_u32_e32 v40, vcc, 0, v11, vcc
	s_waitcnt vmcnt(0)
	v_cmp_neq_f64_e32 vcc, 0, v[44:45]
	v_cndmask_b32_e32 v10, v10, v39, vcc
	v_cndmask_b32_e32 v11, v11, v40, vcc
	v_add_co_u32_e32 v39, vcc, 1, v10
	v_addc_co_u32_e32 v40, vcc, 0, v11, vcc
	v_cmp_neq_f64_e32 vcc, 0, v[46:47]
	v_cndmask_b32_e32 v11, v11, v40, vcc
	v_cndmask_b32_e32 v10, v10, v39, vcc
	s_cbranch_execz .LBB30_16
	s_branch .LBB30_17
.LBB30_15:                              ;   in Loop: Header=BB30_4 Depth=1
                                        ; implicit-def: $vgpr8_vgpr9_vgpr10_vgpr11_vgpr12_vgpr13_vgpr14_vgpr15
.LBB30_16:                              ;   in Loop: Header=BB30_4 Depth=1
	v_mov_b32_e32 v15, s17
	v_add_co_u32_e32 v8, vcc, s16, v36
	v_addc_co_u32_e32 v9, vcc, v15, v35, vcc
	global_load_dwordx2 v[8:9], v[8:9], off offset:512
	v_add_co_u32_e32 v10, vcc, s16, v34
	v_addc_co_u32_e32 v11, vcc, v15, v33, vcc
	global_load_dwordx2 v[10:11], v[10:11], off offset:512
	;; [unrolled: 3-line block ×4, first 2 shown]
	v_add_co_u32_e32 v39, vcc, 1, v2
	v_addc_co_u32_e32 v40, vcc, 0, v3, vcc
	s_waitcnt vmcnt(3)
	v_cmp_neq_f64_e32 vcc, 0, v[8:9]
	v_cndmask_b32_e32 v2, v2, v39, vcc
	v_cndmask_b32_e32 v3, v3, v40, vcc
	v_add_co_u32_e32 v8, vcc, 1, v2
	v_addc_co_u32_e32 v9, vcc, 0, v3, vcc
	s_waitcnt vmcnt(2)
	v_cmp_neq_f64_e32 vcc, 0, v[10:11]
	v_cndmask_b32_e32 v2, v2, v8, vcc
	v_cndmask_b32_e32 v3, v3, v9, vcc
	;; [unrolled: 6-line block ×4, first 2 shown]
	v_pk_mov_b32 v[14:15], v[6:7], v[6:7] op_sel:[0,1]
	v_pk_mov_b32 v[12:13], v[4:5], v[4:5] op_sel:[0,1]
	;; [unrolled: 1-line block ×4, first 2 shown]
.LBB30_17:                              ;   in Loop: Header=BB30_4 Depth=1
	v_pk_mov_b32 v[0:1], v[8:9], v[8:9] op_sel:[0,1]
	v_pk_mov_b32 v[2:3], v[10:11], v[10:11] op_sel:[0,1]
	;; [unrolled: 1-line block ×4, first 2 shown]
	s_or_b64 exec, exec, s[20:21]
	s_and_saveexec_b64 s[20:21], s[4:5]
	s_cbranch_execz .LBB30_7
.LBB30_18:                              ;   in Loop: Header=BB30_4 Depth=1
	s_and_b64 vcc, exec, s[8:9]
	s_cbranch_vccnz .LBB30_20
; %bb.19:                               ;   in Loop: Header=BB30_4 Depth=1
	v_mov_b32_e32 v9, s17
	v_add_co_u32_e32 v8, vcc, s16, v26
	v_addc_co_u32_e32 v9, vcc, v9, v25, vcc
	global_load_dwordx4 v[40:43], v[8:9], off
	global_load_dwordx4 v[44:47], v[8:9], off offset:16
	v_add_co_u32_e32 v12, vcc, 1, v4
	v_addc_co_u32_e32 v13, vcc, 0, v5, vcc
	v_mov_b32_e32 v8, v0
	v_mov_b32_e32 v9, v1
	;; [unrolled: 1-line block ×6, first 2 shown]
	s_waitcnt vmcnt(1)
	v_cmp_neq_f64_e32 vcc, 0, v[40:41]
	v_cndmask_b32_e32 v12, v4, v12, vcc
	v_cndmask_b32_e32 v13, v5, v13, vcc
	v_add_co_u32_e32 v39, vcc, 1, v12
	v_addc_co_u32_e32 v40, vcc, 0, v13, vcc
	v_cmp_neq_f64_e32 vcc, 0, v[42:43]
	v_cndmask_b32_e32 v12, v12, v39, vcc
	v_cndmask_b32_e32 v13, v13, v40, vcc
	v_add_co_u32_e32 v39, vcc, 1, v12
	v_addc_co_u32_e32 v40, vcc, 0, v13, vcc
	s_waitcnt vmcnt(0)
	v_cmp_neq_f64_e32 vcc, 0, v[44:45]
	v_cndmask_b32_e32 v12, v12, v39, vcc
	v_cndmask_b32_e32 v13, v13, v40, vcc
	v_add_co_u32_e32 v39, vcc, 1, v12
	v_addc_co_u32_e32 v40, vcc, 0, v13, vcc
	v_cmp_neq_f64_e32 vcc, 0, v[46:47]
	v_cndmask_b32_e32 v13, v13, v40, vcc
	v_cndmask_b32_e32 v12, v12, v39, vcc
	s_cbranch_execz .LBB30_21
	s_branch .LBB30_22
.LBB30_20:                              ;   in Loop: Header=BB30_4 Depth=1
                                        ; implicit-def: $vgpr8_vgpr9_vgpr10_vgpr11_vgpr12_vgpr13_vgpr14_vgpr15
.LBB30_21:                              ;   in Loop: Header=BB30_4 Depth=1
	v_mov_b32_e32 v15, s17
	v_add_co_u32_e32 v8, vcc, s16, v36
	v_addc_co_u32_e32 v9, vcc, v15, v35, vcc
	global_load_dwordx2 v[8:9], v[8:9], off offset:1024
	v_add_co_u32_e32 v10, vcc, s16, v34
	v_addc_co_u32_e32 v11, vcc, v15, v33, vcc
	global_load_dwordx2 v[10:11], v[10:11], off offset:1024
	;; [unrolled: 3-line block ×4, first 2 shown]
	v_add_co_u32_e32 v39, vcc, 1, v4
	v_addc_co_u32_e32 v40, vcc, 0, v5, vcc
	s_waitcnt vmcnt(3)
	v_cmp_neq_f64_e32 vcc, 0, v[8:9]
	v_cndmask_b32_e32 v4, v4, v39, vcc
	v_cndmask_b32_e32 v5, v5, v40, vcc
	v_add_co_u32_e32 v8, vcc, 1, v4
	v_addc_co_u32_e32 v9, vcc, 0, v5, vcc
	s_waitcnt vmcnt(2)
	v_cmp_neq_f64_e32 vcc, 0, v[10:11]
	v_cndmask_b32_e32 v4, v4, v8, vcc
	v_cndmask_b32_e32 v5, v5, v9, vcc
	;; [unrolled: 6-line block ×4, first 2 shown]
	v_pk_mov_b32 v[14:15], v[6:7], v[6:7] op_sel:[0,1]
	v_pk_mov_b32 v[12:13], v[4:5], v[4:5] op_sel:[0,1]
	;; [unrolled: 1-line block ×4, first 2 shown]
.LBB30_22:                              ;   in Loop: Header=BB30_4 Depth=1
	v_pk_mov_b32 v[0:1], v[8:9], v[8:9] op_sel:[0,1]
	v_pk_mov_b32 v[2:3], v[10:11], v[10:11] op_sel:[0,1]
	;; [unrolled: 1-line block ×4, first 2 shown]
	s_or_b64 exec, exec, s[20:21]
	s_and_saveexec_b64 s[20:21], s[6:7]
	s_cbranch_execz .LBB30_3
.LBB30_23:                              ;   in Loop: Header=BB30_4 Depth=1
	s_and_b64 vcc, exec, s[8:9]
	s_cbranch_vccnz .LBB30_25
; %bb.24:                               ;   in Loop: Header=BB30_4 Depth=1
	v_mov_b32_e32 v9, s17
	v_add_co_u32_e32 v8, vcc, s16, v28
	v_addc_co_u32_e32 v9, vcc, v9, v27, vcc
	global_load_dwordx4 v[40:43], v[8:9], off
	global_load_dwordx4 v[44:47], v[8:9], off offset:16
	v_add_co_u32_e32 v14, vcc, 1, v6
	v_addc_co_u32_e32 v15, vcc, 0, v7, vcc
	v_mov_b32_e32 v8, v0
	v_mov_b32_e32 v9, v1
	;; [unrolled: 1-line block ×6, first 2 shown]
	s_waitcnt vmcnt(1)
	v_cmp_neq_f64_e32 vcc, 0, v[40:41]
	v_cndmask_b32_e32 v14, v6, v14, vcc
	v_cndmask_b32_e32 v15, v7, v15, vcc
	v_add_co_u32_e32 v39, vcc, 1, v14
	v_addc_co_u32_e32 v40, vcc, 0, v15, vcc
	v_cmp_neq_f64_e32 vcc, 0, v[42:43]
	v_cndmask_b32_e32 v14, v14, v39, vcc
	v_cndmask_b32_e32 v15, v15, v40, vcc
	v_add_co_u32_e32 v39, vcc, 1, v14
	v_addc_co_u32_e32 v40, vcc, 0, v15, vcc
	s_waitcnt vmcnt(0)
	v_cmp_neq_f64_e32 vcc, 0, v[44:45]
	v_cndmask_b32_e32 v14, v14, v39, vcc
	v_cndmask_b32_e32 v15, v15, v40, vcc
	v_add_co_u32_e32 v39, vcc, 1, v14
	v_addc_co_u32_e32 v40, vcc, 0, v15, vcc
	v_cmp_neq_f64_e32 vcc, 0, v[46:47]
	v_cndmask_b32_e32 v15, v15, v40, vcc
	v_cndmask_b32_e32 v14, v14, v39, vcc
	s_cbranch_execnz .LBB30_2
	s_branch .LBB30_26
.LBB30_25:                              ;   in Loop: Header=BB30_4 Depth=1
                                        ; implicit-def: $vgpr8_vgpr9_vgpr10_vgpr11_vgpr12_vgpr13_vgpr14_vgpr15
.LBB30_26:                              ;   in Loop: Header=BB30_4 Depth=1
	v_mov_b32_e32 v15, s17
	v_add_co_u32_e32 v8, vcc, s16, v36
	v_addc_co_u32_e32 v9, vcc, v15, v35, vcc
	global_load_dwordx2 v[8:9], v[8:9], off offset:1536
	v_add_co_u32_e32 v10, vcc, s16, v34
	v_addc_co_u32_e32 v11, vcc, v15, v33, vcc
	global_load_dwordx2 v[10:11], v[10:11], off offset:1536
	;; [unrolled: 3-line block ×4, first 2 shown]
	v_add_co_u32_e32 v39, vcc, 1, v6
	v_addc_co_u32_e32 v40, vcc, 0, v7, vcc
	s_waitcnt vmcnt(3)
	v_cmp_neq_f64_e32 vcc, 0, v[8:9]
	v_cndmask_b32_e32 v6, v6, v39, vcc
	v_cndmask_b32_e32 v7, v7, v40, vcc
	v_add_co_u32_e32 v8, vcc, 1, v6
	v_addc_co_u32_e32 v9, vcc, 0, v7, vcc
	s_waitcnt vmcnt(2)
	v_cmp_neq_f64_e32 vcc, 0, v[10:11]
	v_cndmask_b32_e32 v6, v6, v8, vcc
	v_cndmask_b32_e32 v7, v7, v9, vcc
	v_add_co_u32_e32 v8, vcc, 1, v6
	v_addc_co_u32_e32 v9, vcc, 0, v7, vcc
	s_waitcnt vmcnt(1)
	v_cmp_neq_f64_e32 vcc, 0, v[12:13]
	v_cndmask_b32_e32 v6, v6, v8, vcc
	v_cndmask_b32_e32 v7, v7, v9, vcc
	v_add_co_u32_e32 v8, vcc, 1, v6
	v_addc_co_u32_e32 v9, vcc, 0, v7, vcc
	s_waitcnt vmcnt(0)
	v_cmp_neq_f64_e32 vcc, 0, v[14:15]
	v_cndmask_b32_e32 v7, v7, v9, vcc
	v_cndmask_b32_e32 v6, v6, v8, vcc
	v_pk_mov_b32 v[14:15], v[6:7], v[6:7] op_sel:[0,1]
	v_pk_mov_b32 v[12:13], v[4:5], v[4:5] op_sel:[0,1]
	;; [unrolled: 1-line block ×4, first 2 shown]
	s_branch .LBB30_2
.LBB30_27:
	s_or_b64 exec, exec, s[40:41]
.LBB30_28:
	s_or_b64 exec, exec, s[34:35]
	v_cmp_lt_i64_e64 s[0:1], s[28:29], 1
	s_and_b64 vcc, exec, s[0:1]
	s_cbranch_vccnz .LBB30_126
; %bb.29:
	v_lshlrev_b64 v[8:9], 3, v[16:17]
	v_mov_b32_e32 v10, s17
	v_add_co_u32_e32 v22, vcc, s16, v8
	s_cmp_eq_u32 s42, 1
	v_addc_co_u32_e32 v23, vcc, v10, v9, vcc
	s_cselect_b64 s[2:3], -1, 0
	s_cmp_lg_u32 s42, 1
	s_cselect_b64 s[0:1], -1, 0
	v_cmp_gt_i64_e32 vcc, s[12:13], v[18:19]
	v_lshlrev_b64 v[8:9], 3, v[18:19]
	s_and_saveexec_b64 s[4:5], vcc
	s_cbranch_execz .LBB30_53
; %bb.30:
	v_mad_u64_u32 v[10:11], s[6:7], v18, s18, 0
	v_mov_b32_e32 v12, v11
	v_mad_u64_u32 v[12:13], s[6:7], v18, s19, v[12:13]
	v_mov_b32_e32 v11, v12
	v_lshlrev_b64 v[10:11], 3, v[10:11]
	v_add_co_u32_e32 v10, vcc, v22, v10
	v_addc_co_u32_e32 v11, vcc, v23, v11, vcc
	v_mov_b32_e32 v12, s17
	v_add_co_u32_e32 v21, vcc, s16, v8
	v_addc_co_u32_e32 v24, vcc, v12, v9, vcc
	v_cmp_gt_i64_e32 vcc, s[14:15], v[16:17]
	s_and_saveexec_b64 s[6:7], vcc
	s_cbranch_execz .LBB30_34
; %bb.31:
	s_andn2_b64 vcc, exec, s[2:3]
	v_pk_mov_b32 v[12:13], v[10:11], v[10:11] op_sel:[0,1]
	s_cbranch_vccnz .LBB30_33
; %bb.32:
	v_mul_lo_u32 v14, v17, s18
	v_mul_lo_u32 v15, v16, s19
	v_mad_u64_u32 v[12:13], s[8:9], v16, s18, 0
	v_add3_u32 v13, v13, v15, v14
	v_lshlrev_b64 v[12:13], 3, v[12:13]
	v_add_co_u32_e32 v12, vcc, v21, v12
	v_addc_co_u32_e32 v13, vcc, v24, v13, vcc
.LBB30_33:
	global_load_dwordx2 v[12:13], v[12:13], off
	s_waitcnt vmcnt(0)
	v_cmp_neq_f64_e32 vcc, 0, v[12:13]
	v_cndmask_b32_e64 v12, 0, 1, vcc
	v_add_co_u32_e32 v0, vcc, v0, v12
	v_addc_co_u32_e32 v1, vcc, 0, v1, vcc
.LBB30_34:
	s_or_b64 exec, exec, s[6:7]
	v_or_b32_e32 v12, 1, v16
	v_mov_b32_e32 v13, v17
	v_cmp_gt_i64_e32 vcc, s[14:15], v[12:13]
	s_and_saveexec_b64 s[6:7], vcc
	s_cbranch_execz .LBB30_40
; %bb.35:
	s_andn2_b64 vcc, exec, s[0:1]
	s_cbranch_vccnz .LBB30_37
; %bb.36:
	v_add_co_u32_e32 v14, vcc, 8, v10
	v_addc_co_u32_e32 v15, vcc, 0, v11, vcc
	s_cbranch_execz .LBB30_38
	s_branch .LBB30_39
.LBB30_37:
                                        ; implicit-def: $vgpr14_vgpr15
.LBB30_38:
	v_mul_lo_u32 v14, v13, s18
	v_mul_lo_u32 v15, v12, s19
	v_mad_u64_u32 v[12:13], s[8:9], v12, s18, 0
	v_add3_u32 v13, v13, v15, v14
	v_lshlrev_b64 v[12:13], 3, v[12:13]
	v_add_co_u32_e32 v14, vcc, v21, v12
	v_addc_co_u32_e32 v15, vcc, v24, v13, vcc
.LBB30_39:
	global_load_dwordx2 v[12:13], v[14:15], off
	s_waitcnt vmcnt(0)
	v_cmp_neq_f64_e32 vcc, 0, v[12:13]
	v_cndmask_b32_e64 v12, 0, 1, vcc
	v_add_co_u32_e32 v0, vcc, v0, v12
	v_addc_co_u32_e32 v1, vcc, 0, v1, vcc
.LBB30_40:
	s_or_b64 exec, exec, s[6:7]
	v_or_b32_e32 v12, 2, v16
	v_mov_b32_e32 v13, v17
	v_cmp_gt_i64_e32 vcc, s[14:15], v[12:13]
	s_and_saveexec_b64 s[6:7], vcc
	s_cbranch_execz .LBB30_46
; %bb.41:
	s_andn2_b64 vcc, exec, s[0:1]
	s_cbranch_vccnz .LBB30_43
; %bb.42:
	v_add_co_u32_e32 v14, vcc, 16, v10
	v_addc_co_u32_e32 v15, vcc, 0, v11, vcc
	s_cbranch_execz .LBB30_44
	s_branch .LBB30_45
.LBB30_43:
                                        ; implicit-def: $vgpr14_vgpr15
.LBB30_44:
	v_mul_lo_u32 v14, v13, s18
	v_mul_lo_u32 v15, v12, s19
	v_mad_u64_u32 v[12:13], s[8:9], v12, s18, 0
	v_add3_u32 v13, v13, v15, v14
	v_lshlrev_b64 v[12:13], 3, v[12:13]
	v_add_co_u32_e32 v14, vcc, v21, v12
	v_addc_co_u32_e32 v15, vcc, v24, v13, vcc
.LBB30_45:
	global_load_dwordx2 v[12:13], v[14:15], off
	s_waitcnt vmcnt(0)
	v_cmp_neq_f64_e32 vcc, 0, v[12:13]
	v_cndmask_b32_e64 v12, 0, 1, vcc
	v_add_co_u32_e32 v0, vcc, v0, v12
	v_addc_co_u32_e32 v1, vcc, 0, v1, vcc
.LBB30_46:
	s_or_b64 exec, exec, s[6:7]
	v_or_b32_e32 v12, 3, v16
	v_mov_b32_e32 v13, v17
	v_cmp_gt_i64_e32 vcc, s[14:15], v[12:13]
	s_and_saveexec_b64 s[6:7], vcc
	s_cbranch_execz .LBB30_52
; %bb.47:
	s_andn2_b64 vcc, exec, s[0:1]
	s_cbranch_vccnz .LBB30_49
; %bb.48:
	v_add_co_u32_e32 v10, vcc, 24, v10
	v_addc_co_u32_e32 v11, vcc, 0, v11, vcc
	s_cbranch_execz .LBB30_50
	s_branch .LBB30_51
.LBB30_49:
                                        ; implicit-def: $vgpr10_vgpr11
.LBB30_50:
	v_mul_lo_u32 v13, v13, s18
	v_mul_lo_u32 v14, v12, s19
	v_mad_u64_u32 v[10:11], s[8:9], v12, s18, 0
	v_add3_u32 v11, v11, v14, v13
	v_lshlrev_b64 v[10:11], 3, v[10:11]
	v_add_co_u32_e32 v10, vcc, v21, v10
	v_addc_co_u32_e32 v11, vcc, v24, v11, vcc
.LBB30_51:
	global_load_dwordx2 v[10:11], v[10:11], off
	s_waitcnt vmcnt(0)
	v_cmp_neq_f64_e32 vcc, 0, v[10:11]
	v_cndmask_b32_e64 v10, 0, 1, vcc
	v_add_co_u32_e32 v0, vcc, v0, v10
	v_addc_co_u32_e32 v1, vcc, 0, v1, vcc
.LBB30_52:
	s_or_b64 exec, exec, s[6:7]
.LBB30_53:
	s_or_b64 exec, exec, s[4:5]
	v_mov_b32_e32 v21, v19
	v_cmp_gt_i64_e32 vcc, s[12:13], v[20:21]
	s_and_saveexec_b64 s[4:5], vcc
	s_cbranch_execz .LBB30_77
; %bb.54:
	v_mad_u64_u32 v[10:11], s[6:7], v20, s18, 0
	v_mov_b32_e32 v12, v11
	v_mad_u64_u32 v[12:13], s[6:7], v20, s19, v[12:13]
	v_mov_b32_e32 v11, v12
	v_lshlrev_b64 v[10:11], 3, v[10:11]
	v_add_co_u32_e32 v10, vcc, v22, v10
	v_addc_co_u32_e32 v11, vcc, v23, v11, vcc
	v_mov_b32_e32 v12, s17
	v_add_co_u32_e32 v20, vcc, s16, v8
	v_addc_co_u32_e32 v21, vcc, v12, v9, vcc
	v_cmp_gt_i64_e32 vcc, s[14:15], v[16:17]
	s_and_saveexec_b64 s[6:7], vcc
	s_cbranch_execz .LBB30_58
; %bb.55:
	s_andn2_b64 vcc, exec, s[2:3]
	v_pk_mov_b32 v[12:13], v[10:11], v[10:11] op_sel:[0,1]
	s_cbranch_vccnz .LBB30_57
; %bb.56:
	v_mul_lo_u32 v14, v17, s18
	v_mul_lo_u32 v15, v16, s19
	v_mad_u64_u32 v[12:13], s[8:9], v16, s18, 0
	v_add3_u32 v13, v13, v15, v14
	v_lshlrev_b64 v[12:13], 3, v[12:13]
	v_add_co_u32_e32 v12, vcc, v20, v12
	v_addc_co_u32_e32 v13, vcc, v21, v13, vcc
	v_add_co_u32_e32 v12, vcc, 0x200, v12
	v_addc_co_u32_e32 v13, vcc, 0, v13, vcc
.LBB30_57:
	global_load_dwordx2 v[12:13], v[12:13], off
	s_waitcnt vmcnt(0)
	v_cmp_neq_f64_e32 vcc, 0, v[12:13]
	v_cndmask_b32_e64 v12, 0, 1, vcc
	v_add_co_u32_e32 v2, vcc, v2, v12
	v_addc_co_u32_e32 v3, vcc, 0, v3, vcc
.LBB30_58:
	s_or_b64 exec, exec, s[6:7]
	v_or_b32_e32 v12, 1, v16
	v_mov_b32_e32 v13, v17
	v_cmp_gt_i64_e32 vcc, s[14:15], v[12:13]
	s_and_saveexec_b64 s[6:7], vcc
	s_cbranch_execz .LBB30_64
; %bb.59:
	s_andn2_b64 vcc, exec, s[0:1]
	s_cbranch_vccnz .LBB30_61
; %bb.60:
	v_add_co_u32_e32 v14, vcc, 8, v10
	v_addc_co_u32_e32 v15, vcc, 0, v11, vcc
	s_cbranch_execz .LBB30_62
	s_branch .LBB30_63
.LBB30_61:
                                        ; implicit-def: $vgpr14_vgpr15
.LBB30_62:
	v_mul_lo_u32 v14, v13, s18
	v_mul_lo_u32 v15, v12, s19
	v_mad_u64_u32 v[12:13], s[8:9], v12, s18, 0
	v_add3_u32 v13, v13, v15, v14
	v_lshlrev_b64 v[12:13], 3, v[12:13]
	v_add_co_u32_e32 v12, vcc, v20, v12
	v_addc_co_u32_e32 v13, vcc, v21, v13, vcc
	v_add_co_u32_e32 v14, vcc, 0x200, v12
	v_addc_co_u32_e32 v15, vcc, 0, v13, vcc
.LBB30_63:
	global_load_dwordx2 v[12:13], v[14:15], off
	s_waitcnt vmcnt(0)
	v_cmp_neq_f64_e32 vcc, 0, v[12:13]
	v_cndmask_b32_e64 v12, 0, 1, vcc
	v_add_co_u32_e32 v2, vcc, v2, v12
	v_addc_co_u32_e32 v3, vcc, 0, v3, vcc
.LBB30_64:
	s_or_b64 exec, exec, s[6:7]
	v_or_b32_e32 v12, 2, v16
	v_mov_b32_e32 v13, v17
	v_cmp_gt_i64_e32 vcc, s[14:15], v[12:13]
	s_and_saveexec_b64 s[6:7], vcc
	s_cbranch_execz .LBB30_70
; %bb.65:
	s_andn2_b64 vcc, exec, s[0:1]
	s_cbranch_vccnz .LBB30_67
; %bb.66:
	v_add_co_u32_e32 v14, vcc, 16, v10
	v_addc_co_u32_e32 v15, vcc, 0, v11, vcc
	s_cbranch_execz .LBB30_68
	s_branch .LBB30_69
.LBB30_67:
                                        ; implicit-def: $vgpr14_vgpr15
.LBB30_68:
	v_mul_lo_u32 v14, v13, s18
	v_mul_lo_u32 v15, v12, s19
	v_mad_u64_u32 v[12:13], s[8:9], v12, s18, 0
	v_add3_u32 v13, v13, v15, v14
	v_lshlrev_b64 v[12:13], 3, v[12:13]
	v_add_co_u32_e32 v12, vcc, v20, v12
	v_addc_co_u32_e32 v13, vcc, v21, v13, vcc
	v_add_co_u32_e32 v14, vcc, 0x200, v12
	v_addc_co_u32_e32 v15, vcc, 0, v13, vcc
.LBB30_69:
	global_load_dwordx2 v[12:13], v[14:15], off
	s_waitcnt vmcnt(0)
	v_cmp_neq_f64_e32 vcc, 0, v[12:13]
	v_cndmask_b32_e64 v12, 0, 1, vcc
	v_add_co_u32_e32 v2, vcc, v2, v12
	v_addc_co_u32_e32 v3, vcc, 0, v3, vcc
.LBB30_70:
	s_or_b64 exec, exec, s[6:7]
	v_or_b32_e32 v12, 3, v16
	v_mov_b32_e32 v13, v17
	v_cmp_gt_i64_e32 vcc, s[14:15], v[12:13]
	s_and_saveexec_b64 s[6:7], vcc
	s_cbranch_execz .LBB30_76
; %bb.71:
	s_andn2_b64 vcc, exec, s[0:1]
	s_cbranch_vccnz .LBB30_73
; %bb.72:
	v_add_co_u32_e32 v10, vcc, 24, v10
	v_addc_co_u32_e32 v11, vcc, 0, v11, vcc
	s_cbranch_execz .LBB30_74
	s_branch .LBB30_75
.LBB30_73:
                                        ; implicit-def: $vgpr10_vgpr11
.LBB30_74:
	v_mul_lo_u32 v13, v13, s18
	v_mul_lo_u32 v14, v12, s19
	v_mad_u64_u32 v[10:11], s[8:9], v12, s18, 0
	v_add3_u32 v11, v11, v14, v13
	v_lshlrev_b64 v[10:11], 3, v[10:11]
	v_add_co_u32_e32 v10, vcc, v20, v10
	v_addc_co_u32_e32 v11, vcc, v21, v11, vcc
	v_add_co_u32_e32 v10, vcc, 0x200, v10
	v_addc_co_u32_e32 v11, vcc, 0, v11, vcc
.LBB30_75:
	global_load_dwordx2 v[10:11], v[10:11], off
	s_waitcnt vmcnt(0)
	v_cmp_neq_f64_e32 vcc, 0, v[10:11]
	v_cndmask_b32_e64 v10, 0, 1, vcc
	v_add_co_u32_e32 v2, vcc, v2, v10
	v_addc_co_u32_e32 v3, vcc, 0, v3, vcc
.LBB30_76:
	s_or_b64 exec, exec, s[6:7]
.LBB30_77:
	s_or_b64 exec, exec, s[4:5]
	v_or_b32_e32 v10, 0x80, v18
	v_mov_b32_e32 v11, v19
	v_cmp_gt_i64_e32 vcc, s[12:13], v[10:11]
	s_and_saveexec_b64 s[4:5], vcc
	s_cbranch_execz .LBB30_101
; %bb.78:
	v_mad_u64_u32 v[12:13], s[6:7], v10, s18, 0
	v_mov_b32_e32 v14, v13
	v_mad_u64_u32 v[10:11], s[6:7], v10, s19, v[14:15]
	v_mov_b32_e32 v13, v10
	v_lshlrev_b64 v[10:11], 3, v[12:13]
	v_add_co_u32_e32 v10, vcc, v22, v10
	v_addc_co_u32_e32 v11, vcc, v23, v11, vcc
	v_mov_b32_e32 v12, s17
	v_add_co_u32_e32 v20, vcc, s16, v8
	v_addc_co_u32_e32 v21, vcc, v12, v9, vcc
	v_cmp_gt_i64_e32 vcc, s[14:15], v[16:17]
	s_and_saveexec_b64 s[6:7], vcc
	s_cbranch_execz .LBB30_82
; %bb.79:
	s_andn2_b64 vcc, exec, s[2:3]
	v_pk_mov_b32 v[12:13], v[10:11], v[10:11] op_sel:[0,1]
	s_cbranch_vccnz .LBB30_81
; %bb.80:
	v_mul_lo_u32 v14, v17, s18
	v_mul_lo_u32 v15, v16, s19
	v_mad_u64_u32 v[12:13], s[8:9], v16, s18, 0
	v_add3_u32 v13, v13, v15, v14
	v_lshlrev_b64 v[12:13], 3, v[12:13]
	v_add_co_u32_e32 v12, vcc, v20, v12
	v_addc_co_u32_e32 v13, vcc, v21, v13, vcc
	v_add_co_u32_e32 v12, vcc, 0x400, v12
	v_addc_co_u32_e32 v13, vcc, 0, v13, vcc
.LBB30_81:
	global_load_dwordx2 v[12:13], v[12:13], off
	s_waitcnt vmcnt(0)
	v_cmp_neq_f64_e32 vcc, 0, v[12:13]
	v_cndmask_b32_e64 v12, 0, 1, vcc
	v_add_co_u32_e32 v4, vcc, v4, v12
	v_addc_co_u32_e32 v5, vcc, 0, v5, vcc
.LBB30_82:
	s_or_b64 exec, exec, s[6:7]
	v_or_b32_e32 v12, 1, v16
	v_mov_b32_e32 v13, v17
	v_cmp_gt_i64_e32 vcc, s[14:15], v[12:13]
	s_and_saveexec_b64 s[6:7], vcc
	s_cbranch_execz .LBB30_88
; %bb.83:
	s_andn2_b64 vcc, exec, s[0:1]
	s_cbranch_vccnz .LBB30_85
; %bb.84:
	v_add_co_u32_e32 v14, vcc, 8, v10
	v_addc_co_u32_e32 v15, vcc, 0, v11, vcc
	s_cbranch_execz .LBB30_86
	s_branch .LBB30_87
.LBB30_85:
                                        ; implicit-def: $vgpr14_vgpr15
.LBB30_86:
	v_mul_lo_u32 v14, v13, s18
	v_mul_lo_u32 v15, v12, s19
	v_mad_u64_u32 v[12:13], s[8:9], v12, s18, 0
	v_add3_u32 v13, v13, v15, v14
	v_lshlrev_b64 v[12:13], 3, v[12:13]
	v_add_co_u32_e32 v12, vcc, v20, v12
	v_addc_co_u32_e32 v13, vcc, v21, v13, vcc
	v_add_co_u32_e32 v14, vcc, 0x400, v12
	v_addc_co_u32_e32 v15, vcc, 0, v13, vcc
.LBB30_87:
	global_load_dwordx2 v[12:13], v[14:15], off
	s_waitcnt vmcnt(0)
	v_cmp_neq_f64_e32 vcc, 0, v[12:13]
	v_cndmask_b32_e64 v12, 0, 1, vcc
	v_add_co_u32_e32 v4, vcc, v4, v12
	v_addc_co_u32_e32 v5, vcc, 0, v5, vcc
.LBB30_88:
	s_or_b64 exec, exec, s[6:7]
	v_or_b32_e32 v12, 2, v16
	v_mov_b32_e32 v13, v17
	v_cmp_gt_i64_e32 vcc, s[14:15], v[12:13]
	s_and_saveexec_b64 s[6:7], vcc
	s_cbranch_execz .LBB30_94
; %bb.89:
	s_andn2_b64 vcc, exec, s[0:1]
	s_cbranch_vccnz .LBB30_91
; %bb.90:
	v_add_co_u32_e32 v14, vcc, 16, v10
	v_addc_co_u32_e32 v15, vcc, 0, v11, vcc
	s_cbranch_execz .LBB30_92
	s_branch .LBB30_93
.LBB30_91:
                                        ; implicit-def: $vgpr14_vgpr15
.LBB30_92:
	v_mul_lo_u32 v14, v13, s18
	v_mul_lo_u32 v15, v12, s19
	v_mad_u64_u32 v[12:13], s[8:9], v12, s18, 0
	v_add3_u32 v13, v13, v15, v14
	v_lshlrev_b64 v[12:13], 3, v[12:13]
	v_add_co_u32_e32 v12, vcc, v20, v12
	v_addc_co_u32_e32 v13, vcc, v21, v13, vcc
	v_add_co_u32_e32 v14, vcc, 0x400, v12
	v_addc_co_u32_e32 v15, vcc, 0, v13, vcc
.LBB30_93:
	global_load_dwordx2 v[12:13], v[14:15], off
	s_waitcnt vmcnt(0)
	v_cmp_neq_f64_e32 vcc, 0, v[12:13]
	v_cndmask_b32_e64 v12, 0, 1, vcc
	v_add_co_u32_e32 v4, vcc, v4, v12
	v_addc_co_u32_e32 v5, vcc, 0, v5, vcc
.LBB30_94:
	s_or_b64 exec, exec, s[6:7]
	v_or_b32_e32 v12, 3, v16
	v_mov_b32_e32 v13, v17
	v_cmp_gt_i64_e32 vcc, s[14:15], v[12:13]
	s_and_saveexec_b64 s[6:7], vcc
	s_cbranch_execz .LBB30_100
; %bb.95:
	s_andn2_b64 vcc, exec, s[0:1]
	s_cbranch_vccnz .LBB30_97
; %bb.96:
	v_add_co_u32_e32 v10, vcc, 24, v10
	v_addc_co_u32_e32 v11, vcc, 0, v11, vcc
	s_cbranch_execz .LBB30_98
	s_branch .LBB30_99
.LBB30_97:
                                        ; implicit-def: $vgpr10_vgpr11
.LBB30_98:
	v_mul_lo_u32 v13, v13, s18
	v_mul_lo_u32 v14, v12, s19
	v_mad_u64_u32 v[10:11], s[8:9], v12, s18, 0
	v_add3_u32 v11, v11, v14, v13
	v_lshlrev_b64 v[10:11], 3, v[10:11]
	v_add_co_u32_e32 v10, vcc, v20, v10
	v_addc_co_u32_e32 v11, vcc, v21, v11, vcc
	v_add_co_u32_e32 v10, vcc, 0x400, v10
	v_addc_co_u32_e32 v11, vcc, 0, v11, vcc
.LBB30_99:
	global_load_dwordx2 v[10:11], v[10:11], off
	s_waitcnt vmcnt(0)
	v_cmp_neq_f64_e32 vcc, 0, v[10:11]
	v_cndmask_b32_e64 v10, 0, 1, vcc
	v_add_co_u32_e32 v4, vcc, v4, v10
	v_addc_co_u32_e32 v5, vcc, 0, v5, vcc
.LBB30_100:
	s_or_b64 exec, exec, s[6:7]
.LBB30_101:
	s_or_b64 exec, exec, s[4:5]
	v_or_b32_e32 v18, 0xc0, v18
	v_cmp_gt_i64_e32 vcc, s[12:13], v[18:19]
	s_and_saveexec_b64 s[4:5], vcc
	s_cbranch_execz .LBB30_125
; %bb.102:
	v_mad_u64_u32 v[10:11], s[6:7], v18, s18, 0
	v_mov_b32_e32 v12, v11
	v_mad_u64_u32 v[12:13], s[6:7], v18, s19, v[12:13]
	v_mov_b32_e32 v11, v12
	v_lshlrev_b64 v[10:11], 3, v[10:11]
	v_add_co_u32_e32 v10, vcc, v22, v10
	v_addc_co_u32_e32 v11, vcc, v23, v11, vcc
	v_mov_b32_e32 v12, s17
	v_add_co_u32_e32 v14, vcc, s16, v8
	v_addc_co_u32_e32 v15, vcc, v12, v9, vcc
	v_cmp_gt_i64_e32 vcc, s[14:15], v[16:17]
	s_and_saveexec_b64 s[6:7], vcc
	s_cbranch_execz .LBB30_106
; %bb.103:
	s_andn2_b64 vcc, exec, s[2:3]
	v_pk_mov_b32 v[8:9], v[10:11], v[10:11] op_sel:[0,1]
	s_cbranch_vccnz .LBB30_105
; %bb.104:
	v_mul_lo_u32 v12, v17, s18
	v_mul_lo_u32 v13, v16, s19
	v_mad_u64_u32 v[8:9], s[2:3], v16, s18, 0
	v_add3_u32 v9, v9, v13, v12
	v_lshlrev_b64 v[8:9], 3, v[8:9]
	v_add_co_u32_e32 v8, vcc, v14, v8
	v_addc_co_u32_e32 v9, vcc, v15, v9, vcc
	v_add_co_u32_e32 v8, vcc, 0x600, v8
	v_addc_co_u32_e32 v9, vcc, 0, v9, vcc
.LBB30_105:
	global_load_dwordx2 v[8:9], v[8:9], off
	s_waitcnt vmcnt(0)
	v_cmp_neq_f64_e32 vcc, 0, v[8:9]
	v_cndmask_b32_e64 v8, 0, 1, vcc
	v_add_co_u32_e32 v6, vcc, v6, v8
	v_addc_co_u32_e32 v7, vcc, 0, v7, vcc
.LBB30_106:
	s_or_b64 exec, exec, s[6:7]
	v_or_b32_e32 v8, 1, v16
	v_mov_b32_e32 v9, v17
	v_cndmask_b32_e64 v12, 0, 1, s[0:1]
	v_cmp_gt_i64_e32 vcc, s[14:15], v[8:9]
	v_cmp_ne_u32_e64 s[0:1], 1, v12
	s_and_saveexec_b64 s[2:3], vcc
	s_cbranch_execz .LBB30_112
; %bb.107:
	s_and_b64 vcc, exec, s[0:1]
	s_cbranch_vccnz .LBB30_109
; %bb.108:
	v_add_co_u32_e32 v12, vcc, 8, v10
	v_addc_co_u32_e32 v13, vcc, 0, v11, vcc
	s_cbranch_execz .LBB30_110
	s_branch .LBB30_111
.LBB30_109:
                                        ; implicit-def: $vgpr12_vgpr13
.LBB30_110:
	v_mul_lo_u32 v12, v9, s18
	v_mul_lo_u32 v13, v8, s19
	v_mad_u64_u32 v[8:9], s[6:7], v8, s18, 0
	v_add3_u32 v9, v9, v13, v12
	v_lshlrev_b64 v[8:9], 3, v[8:9]
	v_add_co_u32_e32 v8, vcc, v14, v8
	v_addc_co_u32_e32 v9, vcc, v15, v9, vcc
	v_add_co_u32_e32 v12, vcc, 0x600, v8
	v_addc_co_u32_e32 v13, vcc, 0, v9, vcc
.LBB30_111:
	global_load_dwordx2 v[8:9], v[12:13], off
	s_waitcnt vmcnt(0)
	v_cmp_neq_f64_e32 vcc, 0, v[8:9]
	v_cndmask_b32_e64 v8, 0, 1, vcc
	v_add_co_u32_e32 v6, vcc, v6, v8
	v_addc_co_u32_e32 v7, vcc, 0, v7, vcc
.LBB30_112:
	s_or_b64 exec, exec, s[2:3]
	v_or_b32_e32 v8, 2, v16
	v_mov_b32_e32 v9, v17
	v_cmp_gt_i64_e32 vcc, s[14:15], v[8:9]
	s_and_saveexec_b64 s[2:3], vcc
	s_cbranch_execz .LBB30_118
; %bb.113:
	s_and_b64 vcc, exec, s[0:1]
	s_cbranch_vccnz .LBB30_115
; %bb.114:
	v_add_co_u32_e32 v12, vcc, 16, v10
	v_addc_co_u32_e32 v13, vcc, 0, v11, vcc
	s_cbranch_execz .LBB30_116
	s_branch .LBB30_117
.LBB30_115:
                                        ; implicit-def: $vgpr12_vgpr13
.LBB30_116:
	v_mul_lo_u32 v12, v9, s18
	v_mul_lo_u32 v13, v8, s19
	v_mad_u64_u32 v[8:9], s[6:7], v8, s18, 0
	v_add3_u32 v9, v9, v13, v12
	v_lshlrev_b64 v[8:9], 3, v[8:9]
	v_add_co_u32_e32 v8, vcc, v14, v8
	v_addc_co_u32_e32 v9, vcc, v15, v9, vcc
	v_add_co_u32_e32 v12, vcc, 0x600, v8
	v_addc_co_u32_e32 v13, vcc, 0, v9, vcc
.LBB30_117:
	global_load_dwordx2 v[8:9], v[12:13], off
	s_waitcnt vmcnt(0)
	v_cmp_neq_f64_e32 vcc, 0, v[8:9]
	v_cndmask_b32_e64 v8, 0, 1, vcc
	v_add_co_u32_e32 v6, vcc, v6, v8
	v_addc_co_u32_e32 v7, vcc, 0, v7, vcc
.LBB30_118:
	s_or_b64 exec, exec, s[2:3]
	v_or_b32_e32 v16, 3, v16
	v_cmp_gt_i64_e32 vcc, s[14:15], v[16:17]
	s_and_saveexec_b64 s[2:3], vcc
	s_cbranch_execz .LBB30_124
; %bb.119:
	s_and_b64 vcc, exec, s[0:1]
	s_cbranch_vccnz .LBB30_121
; %bb.120:
	v_add_co_u32_e32 v8, vcc, 24, v10
	v_addc_co_u32_e32 v9, vcc, 0, v11, vcc
	s_cbranch_execz .LBB30_122
	s_branch .LBB30_123
.LBB30_121:
                                        ; implicit-def: $vgpr8_vgpr9
.LBB30_122:
	v_mul_lo_u32 v10, v17, s18
	v_mul_lo_u32 v11, v16, s19
	v_mad_u64_u32 v[8:9], s[0:1], v16, s18, 0
	v_add3_u32 v9, v9, v11, v10
	v_lshlrev_b64 v[8:9], 3, v[8:9]
	v_add_co_u32_e32 v8, vcc, v14, v8
	v_addc_co_u32_e32 v9, vcc, v15, v9, vcc
	v_add_co_u32_e32 v8, vcc, 0x600, v8
	v_addc_co_u32_e32 v9, vcc, 0, v9, vcc
.LBB30_123:
	global_load_dwordx2 v[8:9], v[8:9], off
	s_waitcnt vmcnt(0)
	v_cmp_neq_f64_e32 vcc, 0, v[8:9]
	v_cndmask_b32_e64 v8, 0, 1, vcc
	v_add_co_u32_e32 v6, vcc, v6, v8
	v_addc_co_u32_e32 v7, vcc, 0, v7, vcc
.LBB30_124:
	s_or_b64 exec, exec, s[2:3]
.LBB30_125:
	s_or_b64 exec, exec, s[4:5]
.LBB30_126:
	v_lshlrev_b32_e32 v8, 2, v37
	s_mov_b32 s0, 0x1fffff00
	v_and_or_b32 v8, v8, s0, v38
	s_movk_i32 s0, 0x100
	v_lshlrev_b32_e32 v8, 3, v8
	v_cmp_gt_u32_e32 vcc, s0, v37
	ds_write2st64_b64 v8, v[0:1], v[2:3] offset1:1
	ds_write2st64_b64 v8, v[4:5], v[6:7] offset0:2 offset1:3
	s_waitcnt lgkmcnt(0)
	s_barrier
	s_and_saveexec_b64 s[0:1], vcc
	s_cbranch_execz .LBB30_129
; %bb.127:
	v_lshlrev_b32_e32 v10, 3, v37
	ds_read2st64_b64 v[2:5], v10 offset1:4
	ds_read2st64_b64 v[6:9], v10 offset0:8 offset1:12
	v_add_co_u32_e32 v0, vcc, s33, v37
	v_addc_co_u32_e64 v1, s[0:1], 0, 0, vcc
	s_waitcnt lgkmcnt(1)
	v_add_co_u32_e32 v2, vcc, v2, v4
	v_addc_co_u32_e32 v3, vcc, v3, v5, vcc
	s_waitcnt lgkmcnt(0)
	v_add_co_u32_e32 v6, vcc, v2, v6
	v_addc_co_u32_e32 v7, vcc, v3, v7, vcc
	ds_read2st64_b64 v[2:5], v10 offset0:16 offset1:20
	v_add_co_u32_e32 v6, vcc, v6, v8
	v_addc_co_u32_e32 v7, vcc, v7, v9, vcc
	s_waitcnt lgkmcnt(0)
	v_add_co_u32_e32 v2, vcc, v6, v2
	v_addc_co_u32_e32 v3, vcc, v7, v3, vcc
	ds_read2st64_b64 v[6:9], v10 offset0:24 offset1:28
	;; [unrolled: 6-line block ×6, first 2 shown]
	v_add_co_u32_e32 v2, vcc, v2, v4
	v_addc_co_u32_e32 v3, vcc, v3, v5, vcc
	s_waitcnt lgkmcnt(0)
	v_add_co_u32_e32 v2, vcc, v2, v6
	v_addc_co_u32_e32 v3, vcc, v3, v7, vcc
	v_add_co_u32_e32 v2, vcc, v2, v8
	v_addc_co_u32_e32 v3, vcc, v3, v9, vcc
	v_cmp_gt_i64_e32 vcc, s[12:13], v[0:1]
	ds_write_b64 v10, v[2:3]
	s_and_b64 exec, exec, vcc
	s_cbranch_execz .LBB30_129
; %bb.128:
	v_lshlrev_b64 v[0:1], 3, v[0:1]
	v_mov_b32_e32 v4, s11
	v_add_co_u32_e32 v0, vcc, s10, v0
	v_addc_co_u32_e32 v1, vcc, v4, v1, vcc
	global_store_dwordx2 v[0:1], v[2:3], off
.LBB30_129:
	s_endpgm
	.section	.rodata,"a",@progbits
	.p2align	6, 0x0
	.amdhsa_kernel _ZN9rocsparseL14nnz_kernel_rowILi64ELi16ElldEEv16rocsparse_order_T2_S2_PKT3_lPT1_
		.amdhsa_group_segment_fixed_size 32768
		.amdhsa_private_segment_fixed_size 0
		.amdhsa_kernarg_size 304
		.amdhsa_user_sgpr_count 6
		.amdhsa_user_sgpr_private_segment_buffer 1
		.amdhsa_user_sgpr_dispatch_ptr 0
		.amdhsa_user_sgpr_queue_ptr 0
		.amdhsa_user_sgpr_kernarg_segment_ptr 1
		.amdhsa_user_sgpr_dispatch_id 0
		.amdhsa_user_sgpr_flat_scratch_init 0
		.amdhsa_user_sgpr_kernarg_preload_length 0
		.amdhsa_user_sgpr_kernarg_preload_offset 0
		.amdhsa_user_sgpr_private_segment_size 0
		.amdhsa_uses_dynamic_stack 0
		.amdhsa_system_sgpr_private_segment_wavefront_offset 0
		.amdhsa_system_sgpr_workgroup_id_x 1
		.amdhsa_system_sgpr_workgroup_id_y 0
		.amdhsa_system_sgpr_workgroup_id_z 0
		.amdhsa_system_sgpr_workgroup_info 0
		.amdhsa_system_vgpr_workitem_id 1
		.amdhsa_next_free_vgpr 48
		.amdhsa_next_free_sgpr 43
		.amdhsa_accum_offset 48
		.amdhsa_reserve_vcc 1
		.amdhsa_reserve_flat_scratch 0
		.amdhsa_float_round_mode_32 0
		.amdhsa_float_round_mode_16_64 0
		.amdhsa_float_denorm_mode_32 3
		.amdhsa_float_denorm_mode_16_64 3
		.amdhsa_dx10_clamp 1
		.amdhsa_ieee_mode 1
		.amdhsa_fp16_overflow 0
		.amdhsa_tg_split 0
		.amdhsa_exception_fp_ieee_invalid_op 0
		.amdhsa_exception_fp_denorm_src 0
		.amdhsa_exception_fp_ieee_div_zero 0
		.amdhsa_exception_fp_ieee_overflow 0
		.amdhsa_exception_fp_ieee_underflow 0
		.amdhsa_exception_fp_ieee_inexact 0
		.amdhsa_exception_int_div_zero 0
	.end_amdhsa_kernel
	.section	.text._ZN9rocsparseL14nnz_kernel_rowILi64ELi16ElldEEv16rocsparse_order_T2_S2_PKT3_lPT1_,"axG",@progbits,_ZN9rocsparseL14nnz_kernel_rowILi64ELi16ElldEEv16rocsparse_order_T2_S2_PKT3_lPT1_,comdat
.Lfunc_end30:
	.size	_ZN9rocsparseL14nnz_kernel_rowILi64ELi16ElldEEv16rocsparse_order_T2_S2_PKT3_lPT1_, .Lfunc_end30-_ZN9rocsparseL14nnz_kernel_rowILi64ELi16ElldEEv16rocsparse_order_T2_S2_PKT3_lPT1_
                                        ; -- End function
	.section	.AMDGPU.csdata,"",@progbits
; Kernel info:
; codeLenInByte = 5300
; NumSgprs: 47
; NumVgprs: 48
; NumAgprs: 0
; TotalNumVgprs: 48
; ScratchSize: 0
; MemoryBound: 0
; FloatMode: 240
; IeeeMode: 1
; LDSByteSize: 32768 bytes/workgroup (compile time only)
; SGPRBlocks: 5
; VGPRBlocks: 5
; NumSGPRsForWavesPerEU: 47
; NumVGPRsForWavesPerEU: 48
; AccumOffset: 48
; Occupancy: 8
; WaveLimiterHint : 0
; COMPUTE_PGM_RSRC2:SCRATCH_EN: 0
; COMPUTE_PGM_RSRC2:USER_SGPR: 6
; COMPUTE_PGM_RSRC2:TRAP_HANDLER: 0
; COMPUTE_PGM_RSRC2:TGID_X_EN: 1
; COMPUTE_PGM_RSRC2:TGID_Y_EN: 0
; COMPUTE_PGM_RSRC2:TGID_Z_EN: 0
; COMPUTE_PGM_RSRC2:TIDIG_COMP_CNT: 1
; COMPUTE_PGM_RSRC3_GFX90A:ACCUM_OFFSET: 11
; COMPUTE_PGM_RSRC3_GFX90A:TG_SPLIT: 0
	.section	.text._ZN9rocsparseL14nnz_kernel_colILi256ElldEEv16rocsparse_order_T1_S2_PKT2_lPT0_,"axG",@progbits,_ZN9rocsparseL14nnz_kernel_colILi256ElldEEv16rocsparse_order_T1_S2_PKT2_lPT0_,comdat
	.globl	_ZN9rocsparseL14nnz_kernel_colILi256ElldEEv16rocsparse_order_T1_S2_PKT2_lPT0_ ; -- Begin function _ZN9rocsparseL14nnz_kernel_colILi256ElldEEv16rocsparse_order_T1_S2_PKT2_lPT0_
	.p2align	8
	.type	_ZN9rocsparseL14nnz_kernel_colILi256ElldEEv16rocsparse_order_T1_S2_PKT2_lPT0_,@function
_ZN9rocsparseL14nnz_kernel_colILi256ElldEEv16rocsparse_order_T1_S2_PKT2_lPT0_: ; @_ZN9rocsparseL14nnz_kernel_colILi256ElldEEv16rocsparse_order_T1_S2_PKT2_lPT0_
; %bb.0:
	s_load_dwordx2 s[8:9], s[4:5], 0x8
	s_load_dword s12, s[4:5], 0x0
	s_load_dwordx4 s[0:3], s[4:5], 0x18
	s_mov_b32 s7, 0
	v_mov_b32_e32 v1, 0
	s_waitcnt lgkmcnt(0)
	s_ashr_i32 s10, s9, 31
	s_lshr_b32 s10, s10, 24
	s_add_u32 s10, s8, s10
	s_addc_u32 s11, s9, 0
	s_and_b32 s10, s10, 0xffffff00
	s_cmp_eq_u32 s12, 1
	s_cbranch_scc1 .LBB31_6
; %bb.1:
	v_mov_b32_e32 v2, 0x100
	v_mov_b32_e32 v3, 0
	v_cmp_lt_i64_e32 vcc, s[8:9], v[2:3]
	v_pk_mov_b32 v[2:3], 0, 0
	s_cbranch_vccnz .LBB31_7
; %bb.2:
	v_mad_u64_u32 v[2:3], s[12:13], s2, v0, 0
	v_mov_b32_e32 v4, v3
	v_mad_u64_u32 v[4:5], s[12:13], s3, v0, v[4:5]
	s_lshl_b64 s[12:13], s[6:7], 3
	v_mov_b32_e32 v3, v4
	s_add_u32 s12, s0, s12
	v_lshlrev_b64 v[2:3], 3, v[2:3]
	s_addc_u32 s13, s1, s13
	v_mov_b32_e32 v5, s13
	v_add_co_u32_e32 v4, vcc, s12, v2
	s_lshl_b64 s[12:13], s[2:3], 11
	v_addc_co_u32_e32 v5, vcc, v5, v3, vcc
	s_mov_b64 s[14:15], 0
	v_pk_mov_b32 v[2:3], 0, 0
	v_mov_b32_e32 v8, s13
	v_pk_mov_b32 v[6:7], s[10:11], s[10:11] op_sel:[0,1]
	s_branch .LBB31_4
.LBB31_3:                               ;   in Loop: Header=BB31_4 Depth=1
	s_or_b64 exec, exec, s[16:17]
	s_add_u32 s14, s14, 0x100
	v_add_co_u32_e32 v4, vcc, s12, v4
	s_addc_u32 s15, s15, 0
	v_addc_co_u32_e32 v5, vcc, v5, v8, vcc
	v_cmp_ge_i64_e32 vcc, s[14:15], v[6:7]
	s_cbranch_vccnz .LBB31_7
.LBB31_4:                               ; =>This Inner Loop Header: Depth=1
	v_mov_b32_e32 v9, s15
	v_add_co_u32_e32 v10, vcc, s14, v0
	v_addc_co_u32_e32 v11, vcc, 0, v9, vcc
	v_cmp_gt_i64_e32 vcc, s[8:9], v[10:11]
	s_and_saveexec_b64 s[16:17], vcc
	s_cbranch_execz .LBB31_3
; %bb.5:                                ;   in Loop: Header=BB31_4 Depth=1
	global_load_dwordx2 v[10:11], v[4:5], off
	s_waitcnt vmcnt(0)
	v_cmp_neq_f64_e32 vcc, 0, v[10:11]
	v_cndmask_b32_e64 v9, 0, 1, vcc
	v_add_co_u32_e32 v2, vcc, v2, v9
	v_addc_co_u32_e32 v3, vcc, 0, v3, vcc
	s_branch .LBB31_3
.LBB31_6:
	s_mov_b64 s[12:13], 0
                                        ; implicit-def: $vgpr2_vgpr3
                                        ; implicit-def: $vgpr4_vgpr5
	s_cbranch_execnz .LBB31_10
	s_branch .LBB31_16
.LBB31_7:
	v_mov_b32_e32 v4, s11
	v_add_co_u32_e32 v6, vcc, s10, v0
	v_addc_co_u32_e32 v7, vcc, 0, v4, vcc
	v_cmp_gt_i64_e32 vcc, s[8:9], v[6:7]
	s_mov_b64 s[14:15], 0
	s_mov_b64 s[12:13], 0
                                        ; implicit-def: $vgpr4_vgpr5
	s_and_saveexec_b64 s[16:17], vcc
	s_xor_b64 s[16:17], exec, s[16:17]
	s_cbranch_execz .LBB31_9
; %bb.8:
	v_mad_u64_u32 v[4:5], s[18:19], v6, s2, 0
	v_mul_lo_u32 v7, v7, s2
	v_mul_lo_u32 v8, v6, s3
	s_lshl_b64 s[18:19], s[6:7], 3
	v_add3_u32 v5, v5, v8, v7
	s_add_u32 s18, s18, s0
	v_lshlrev_b64 v[4:5], 3, v[4:5]
	s_addc_u32 s19, s19, s1
	v_mov_b32_e32 v6, s19
	v_add_co_u32_e32 v4, vcc, s18, v4
	s_mov_b64 s[12:13], exec
	v_addc_co_u32_e32 v5, vcc, v6, v5, vcc
.LBB31_9:
	s_or_b64 exec, exec, s[16:17]
	s_and_b64 vcc, exec, s[14:15]
	s_cbranch_vccz .LBB31_16
.LBB31_10:
	s_mul_i32 s3, s6, s3
	s_mul_hi_u32 s14, s6, s2
	s_add_i32 s3, s14, s3
	s_mul_i32 s2, s6, s2
	s_lshl_b64 s[2:3], s[2:3], 3
	v_cmp_gt_i64_e32 vcc, s[8:9], v[0:1]
	s_add_u32 s0, s0, s2
	v_cndmask_b32_e32 v1, 0, v0, vcc
	s_addc_u32 s1, s1, s3
	v_lshlrev_b32_e32 v1, 3, v1
	v_mov_b32_e32 v2, s1
	v_add_co_u32_e32 v6, vcc, s0, v1
	v_addc_co_u32_e32 v7, vcc, 0, v2, vcc
	v_mov_b32_e32 v2, 0x100
	v_mov_b32_e32 v3, 0
	v_cmp_lt_i64_e32 vcc, s[8:9], v[2:3]
	v_pk_mov_b32 v[2:3], 0, 0
	s_cbranch_vccnz .LBB31_13
; %bb.11:
	s_mov_b64 s[2:3], 0
	v_pk_mov_b32 v[2:3], 0, 0
	v_pk_mov_b32 v[4:5], s[10:11], s[10:11] op_sel:[0,1]
	v_pk_mov_b32 v[8:9], v[6:7], v[6:7] op_sel:[0,1]
.LBB31_12:                              ; =>This Inner Loop Header: Depth=1
	global_load_dwordx2 v[10:11], v[8:9], off
	s_add_u32 s2, s2, 0x100
	v_add_co_u32_e32 v8, vcc, 0x800, v8
	s_addc_u32 s3, s3, 0
	v_addc_co_u32_e32 v9, vcc, 0, v9, vcc
	v_cmp_ge_i64_e32 vcc, s[2:3], v[4:5]
	s_and_b64 vcc, exec, vcc
	s_waitcnt vmcnt(0)
	v_cmp_neq_f64_e64 s[0:1], 0, v[10:11]
	v_cndmask_b32_e64 v1, 0, 1, s[0:1]
	v_add_co_u32_e64 v2, s[0:1], v2, v1
	v_addc_co_u32_e64 v3, s[0:1], 0, v3, s[0:1]
	s_cbranch_vccz .LBB31_12
.LBB31_13:
	v_mov_b32_e32 v1, s11
	v_add_co_u32_e32 v4, vcc, s10, v0
	v_addc_co_u32_e32 v5, vcc, 0, v1, vcc
	v_cmp_gt_i64_e32 vcc, s[8:9], v[4:5]
                                        ; implicit-def: $vgpr4_vgpr5
	s_and_saveexec_b64 s[0:1], vcc
; %bb.14:
	s_lshl_b64 s[2:3], s[10:11], 3
	v_mov_b32_e32 v1, s3
	v_add_co_u32_e32 v4, vcc, s2, v6
	v_addc_co_u32_e32 v5, vcc, v7, v1, vcc
	s_or_b64 s[12:13], s[12:13], exec
; %bb.15:
	s_or_b64 exec, exec, s[0:1]
.LBB31_16:
	s_and_saveexec_b64 s[0:1], s[12:13]
	s_cbranch_execz .LBB31_18
; %bb.17:
	global_load_dwordx2 v[4:5], v[4:5], off
	s_waitcnt vmcnt(0)
	v_cmp_neq_f64_e32 vcc, 0, v[4:5]
	v_cndmask_b32_e64 v1, 0, 1, vcc
	v_add_co_u32_e32 v2, vcc, v2, v1
	v_addc_co_u32_e32 v3, vcc, 0, v3, vcc
.LBB31_18:
	s_or_b64 exec, exec, s[0:1]
	v_lshlrev_b32_e32 v1, 3, v0
	ds_write_b64 v1, v[2:3]
	v_mov_b32_e32 v2, 0x100
	v_mov_b32_e32 v3, 0
	v_cmp_lt_i64_e32 vcc, s[8:9], v[2:3]
	s_mov_b64 s[2:3], -1
	v_cmp_eq_u32_e64 s[0:1], 0, v0
	s_waitcnt lgkmcnt(0)
	s_cbranch_vccnz .LBB31_22
; %bb.19:
	s_and_b64 vcc, exec, s[2:3]
	s_cbranch_vccnz .LBB31_31
.LBB31_20:
	v_cmp_eq_u32_e32 vcc, 0, v0
	s_and_saveexec_b64 s[0:1], vcc
	s_cbranch_execnz .LBB31_48
.LBB31_21:
	s_endpgm
.LBB31_22:
	v_cmp_gt_i64_e64 s[2:3], s[8:9], 1
	s_mov_b64 s[10:11], 1
	s_and_b64 s[2:3], s[0:1], s[2:3]
	s_barrier
	s_and_saveexec_b64 s[0:1], s[2:3]
	s_cbranch_execz .LBB31_30
; %bb.23:
	v_mov_b32_e32 v2, 0
	s_add_u32 s11, s8, -1
	ds_read_b64 v[2:3], v2
	s_addc_u32 s3, s9, -1
	s_add_u32 s8, s8, -2
	s_addc_u32 s9, s9, -1
	v_cmp_lt_u64_e64 s[8:9], s[8:9], 7
	s_and_b64 vcc, exec, s[8:9]
	s_cbranch_vccnz .LBB31_26
; %bb.24:
	s_and_b32 s2, s11, -8
	s_mov_b64 s[8:9], 0
	s_mov_b32 s12, 8
.LBB31_25:                              ; =>This Inner Loop Header: Depth=1
	v_mov_b32_e32 v16, s12
	ds_read2_b64 v[4:7], v16 offset1:1
	ds_read2_b64 v[8:11], v16 offset0:2 offset1:3
	ds_read2_b64 v[12:15], v16 offset0:4 offset1:5
	;; [unrolled: 1-line block ×3, first 2 shown]
	s_add_u32 s14, s8, 8
	s_waitcnt lgkmcnt(3)
	v_add_co_u32_e32 v2, vcc, v2, v4
	v_addc_co_u32_e32 v3, vcc, v3, v5, vcc
	v_add_co_u32_e32 v2, vcc, v2, v6
	v_addc_co_u32_e32 v3, vcc, v3, v7, vcc
	s_waitcnt lgkmcnt(2)
	v_add_co_u32_e32 v2, vcc, v2, v8
	v_addc_co_u32_e32 v3, vcc, v3, v9, vcc
	v_add_co_u32_e32 v2, vcc, v2, v10
	v_addc_co_u32_e32 v3, vcc, v3, v11, vcc
	;; [unrolled: 5-line block ×3, first 2 shown]
	s_waitcnt lgkmcnt(0)
	v_add_co_u32_e32 v2, vcc, v2, v16
	v_addc_co_u32_e32 v3, vcc, v3, v17, vcc
	s_addc_u32 s15, s9, 0
	s_add_i32 s12, s12, 64
	s_add_u32 s10, s8, 9
	v_add_co_u32_e32 v2, vcc, v2, v18
	s_cmp_lg_u64 s[2:3], s[14:15]
	s_mov_b64 s[8:9], s[14:15]
	v_addc_co_u32_e32 v3, vcc, v3, v19, vcc
	s_cbranch_scc1 .LBB31_25
.LBB31_26:
	s_and_b32 s2, s11, 7
	s_mov_b32 s3, 0
	s_cmp_eq_u64 s[2:3], 0
	s_cbranch_scc1 .LBB31_29
; %bb.27:
	s_lshl_b32 s8, s10, 3
.LBB31_28:                              ; =>This Inner Loop Header: Depth=1
	v_mov_b32_e32 v4, s8
	ds_read_b64 v[4:5], v4
	s_add_i32 s8, s8, 8
	s_add_u32 s2, s2, -1
	s_addc_u32 s3, s3, -1
	s_cmp_lg_u64 s[2:3], 0
	s_waitcnt lgkmcnt(0)
	v_add_co_u32_e32 v2, vcc, v2, v4
	v_addc_co_u32_e32 v3, vcc, v3, v5, vcc
	s_cbranch_scc1 .LBB31_28
.LBB31_29:
	v_mov_b32_e32 v4, 0
	s_waitcnt lgkmcnt(0)
	ds_write_b64 v4, v[2:3]
.LBB31_30:
	s_or_b64 exec, exec, s[0:1]
	s_waitcnt lgkmcnt(0)
	s_barrier
	s_branch .LBB31_20
.LBB31_31:
	s_movk_i32 s0, 0x80
	v_cmp_gt_u32_e32 vcc, s0, v0
	s_barrier
	s_and_saveexec_b64 s[0:1], vcc
	s_cbranch_execz .LBB31_33
; %bb.32:
	ds_read2st64_b64 v[2:5], v1 offset1:2
	s_waitcnt lgkmcnt(0)
	v_add_co_u32_e32 v2, vcc, v2, v4
	v_addc_co_u32_e32 v3, vcc, v3, v5, vcc
	ds_write_b64 v1, v[2:3]
.LBB31_33:
	s_or_b64 exec, exec, s[0:1]
	v_cmp_gt_u32_e32 vcc, 64, v0
	s_waitcnt lgkmcnt(0)
	s_barrier
	s_and_saveexec_b64 s[0:1], vcc
	s_cbranch_execz .LBB31_35
; %bb.34:
	ds_read2st64_b64 v[2:5], v1 offset1:1
	s_waitcnt lgkmcnt(0)
	v_add_co_u32_e32 v2, vcc, v2, v4
	v_addc_co_u32_e32 v3, vcc, v3, v5, vcc
	ds_write_b64 v1, v[2:3]
.LBB31_35:
	s_or_b64 exec, exec, s[0:1]
	v_cmp_gt_u32_e32 vcc, 32, v0
	s_waitcnt lgkmcnt(0)
	s_barrier
	s_and_saveexec_b64 s[0:1], vcc
	s_cbranch_execz .LBB31_37
; %bb.36:
	ds_read2_b64 v[2:5], v1 offset1:32
	s_waitcnt lgkmcnt(0)
	v_add_co_u32_e32 v2, vcc, v2, v4
	v_addc_co_u32_e32 v3, vcc, v3, v5, vcc
	ds_write_b64 v1, v[2:3]
.LBB31_37:
	s_or_b64 exec, exec, s[0:1]
	v_cmp_gt_u32_e32 vcc, 16, v0
	s_waitcnt lgkmcnt(0)
	s_barrier
	s_and_saveexec_b64 s[0:1], vcc
	s_cbranch_execz .LBB31_39
; %bb.38:
	ds_read2_b64 v[2:5], v1 offset1:16
	s_waitcnt lgkmcnt(0)
	v_add_co_u32_e32 v2, vcc, v2, v4
	v_addc_co_u32_e32 v3, vcc, v3, v5, vcc
	ds_write_b64 v1, v[2:3]
.LBB31_39:
	;; [unrolled: 13-line block ×5, first 2 shown]
	s_or_b64 exec, exec, s[0:1]
	v_cmp_eq_u32_e32 vcc, 0, v0
	s_waitcnt lgkmcnt(0)
	s_barrier
	s_and_saveexec_b64 s[0:1], vcc
	s_cbranch_execz .LBB31_47
; %bb.46:
	v_mov_b32_e32 v1, 0
	ds_read_b128 v[2:5], v1
	s_waitcnt lgkmcnt(0)
	v_add_co_u32_e32 v2, vcc, v2, v4
	v_addc_co_u32_e32 v3, vcc, v3, v5, vcc
	ds_write_b64 v1, v[2:3]
.LBB31_47:
	s_or_b64 exec, exec, s[0:1]
	s_waitcnt lgkmcnt(0)
	s_barrier
	v_cmp_eq_u32_e32 vcc, 0, v0
	s_and_saveexec_b64 s[0:1], vcc
	s_cbranch_execz .LBB31_21
.LBB31_48:
	s_load_dwordx2 s[0:1], s[4:5], 0x28
	v_mov_b32_e32 v2, 0
	ds_read_b64 v[0:1], v2
	s_lshl_b64 s[2:3], s[6:7], 3
	s_waitcnt lgkmcnt(0)
	s_add_u32 s0, s0, s2
	s_addc_u32 s1, s1, s3
	global_store_dwordx2 v2, v[0:1], s[0:1]
	s_endpgm
	.section	.rodata,"a",@progbits
	.p2align	6, 0x0
	.amdhsa_kernel _ZN9rocsparseL14nnz_kernel_colILi256ElldEEv16rocsparse_order_T1_S2_PKT2_lPT0_
		.amdhsa_group_segment_fixed_size 2048
		.amdhsa_private_segment_fixed_size 0
		.amdhsa_kernarg_size 48
		.amdhsa_user_sgpr_count 6
		.amdhsa_user_sgpr_private_segment_buffer 1
		.amdhsa_user_sgpr_dispatch_ptr 0
		.amdhsa_user_sgpr_queue_ptr 0
		.amdhsa_user_sgpr_kernarg_segment_ptr 1
		.amdhsa_user_sgpr_dispatch_id 0
		.amdhsa_user_sgpr_flat_scratch_init 0
		.amdhsa_user_sgpr_kernarg_preload_length 0
		.amdhsa_user_sgpr_kernarg_preload_offset 0
		.amdhsa_user_sgpr_private_segment_size 0
		.amdhsa_uses_dynamic_stack 0
		.amdhsa_system_sgpr_private_segment_wavefront_offset 0
		.amdhsa_system_sgpr_workgroup_id_x 1
		.amdhsa_system_sgpr_workgroup_id_y 0
		.amdhsa_system_sgpr_workgroup_id_z 0
		.amdhsa_system_sgpr_workgroup_info 0
		.amdhsa_system_vgpr_workitem_id 0
		.amdhsa_next_free_vgpr 20
		.amdhsa_next_free_sgpr 20
		.amdhsa_accum_offset 20
		.amdhsa_reserve_vcc 1
		.amdhsa_reserve_flat_scratch 0
		.amdhsa_float_round_mode_32 0
		.amdhsa_float_round_mode_16_64 0
		.amdhsa_float_denorm_mode_32 3
		.amdhsa_float_denorm_mode_16_64 3
		.amdhsa_dx10_clamp 1
		.amdhsa_ieee_mode 1
		.amdhsa_fp16_overflow 0
		.amdhsa_tg_split 0
		.amdhsa_exception_fp_ieee_invalid_op 0
		.amdhsa_exception_fp_denorm_src 0
		.amdhsa_exception_fp_ieee_div_zero 0
		.amdhsa_exception_fp_ieee_overflow 0
		.amdhsa_exception_fp_ieee_underflow 0
		.amdhsa_exception_fp_ieee_inexact 0
		.amdhsa_exception_int_div_zero 0
	.end_amdhsa_kernel
	.section	.text._ZN9rocsparseL14nnz_kernel_colILi256ElldEEv16rocsparse_order_T1_S2_PKT2_lPT0_,"axG",@progbits,_ZN9rocsparseL14nnz_kernel_colILi256ElldEEv16rocsparse_order_T1_S2_PKT2_lPT0_,comdat
.Lfunc_end31:
	.size	_ZN9rocsparseL14nnz_kernel_colILi256ElldEEv16rocsparse_order_T1_S2_PKT2_lPT0_, .Lfunc_end31-_ZN9rocsparseL14nnz_kernel_colILi256ElldEEv16rocsparse_order_T1_S2_PKT2_lPT0_
                                        ; -- End function
	.section	.AMDGPU.csdata,"",@progbits
; Kernel info:
; codeLenInByte = 1564
; NumSgprs: 24
; NumVgprs: 20
; NumAgprs: 0
; TotalNumVgprs: 20
; ScratchSize: 0
; MemoryBound: 0
; FloatMode: 240
; IeeeMode: 1
; LDSByteSize: 2048 bytes/workgroup (compile time only)
; SGPRBlocks: 2
; VGPRBlocks: 2
; NumSGPRsForWavesPerEU: 24
; NumVGPRsForWavesPerEU: 20
; AccumOffset: 20
; Occupancy: 8
; WaveLimiterHint : 0
; COMPUTE_PGM_RSRC2:SCRATCH_EN: 0
; COMPUTE_PGM_RSRC2:USER_SGPR: 6
; COMPUTE_PGM_RSRC2:TRAP_HANDLER: 0
; COMPUTE_PGM_RSRC2:TGID_X_EN: 1
; COMPUTE_PGM_RSRC2:TGID_Y_EN: 0
; COMPUTE_PGM_RSRC2:TGID_Z_EN: 0
; COMPUTE_PGM_RSRC2:TIDIG_COMP_CNT: 0
; COMPUTE_PGM_RSRC3_GFX90A:ACCUM_OFFSET: 4
; COMPUTE_PGM_RSRC3_GFX90A:TG_SPLIT: 0
	.section	.text._ZN9rocsparseL14nnz_kernel_rowILi64ELi16Ell21rocsparse_complex_numIfEEEv16rocsparse_order_T2_S4_PKT3_lPT1_,"axG",@progbits,_ZN9rocsparseL14nnz_kernel_rowILi64ELi16Ell21rocsparse_complex_numIfEEEv16rocsparse_order_T2_S4_PKT3_lPT1_,comdat
	.globl	_ZN9rocsparseL14nnz_kernel_rowILi64ELi16Ell21rocsparse_complex_numIfEEEv16rocsparse_order_T2_S4_PKT3_lPT1_ ; -- Begin function _ZN9rocsparseL14nnz_kernel_rowILi64ELi16Ell21rocsparse_complex_numIfEEEv16rocsparse_order_T2_S4_PKT3_lPT1_
	.p2align	8
	.type	_ZN9rocsparseL14nnz_kernel_rowILi64ELi16Ell21rocsparse_complex_numIfEEEv16rocsparse_order_T2_S4_PKT3_lPT1_,@function
_ZN9rocsparseL14nnz_kernel_rowILi64ELi16Ell21rocsparse_complex_numIfEEEv16rocsparse_order_T2_S4_PKT3_lPT1_: ; @_ZN9rocsparseL14nnz_kernel_rowILi64ELi16Ell21rocsparse_complex_numIfEEEv16rocsparse_order_T2_S4_PKT3_lPT1_
; %bb.0:
	s_load_dword s0, s[4:5], 0x3c
	s_load_dwordx2 s[34:35], s[4:5], 0x28
	s_load_dword s50, s[4:5], 0x0
	s_load_dwordx8 s[24:31], s[4:5], 0x8
	v_and_b32_e32 v1, 0x3ff, v0
	s_waitcnt lgkmcnt(0)
	s_and_b32 s0, s0, 0xffff
	v_bfe_u32 v0, v0, 10, 10
	v_mad_u32_u24 v37, v0, s0, v1
	s_ashr_i32 s0, s27, 31
	s_lshl_b32 s33, s6, 8
	s_lshr_b32 s0, s0, 26
	s_mov_b32 s8, 0
	s_add_u32 s0, s26, s0
	v_mov_b32_e32 v19, 0
	v_and_b32_e32 v38, 63, v37
	s_addc_u32 s39, s27, 0
	s_and_b32 s38, s0, 0xffffffc0
	v_lshrrev_b32_e32 v0, 4, v37
	s_mov_b32 s9, s8
	v_or_b32_e32 v18, s33, v38
	s_sub_u32 s36, s26, s38
	v_and_b32_e32 v16, 0x7ffffc, v0
	v_mov_b32_e32 v17, v19
	s_mov_b32 s10, s8
	s_mov_b32 s11, s8
	;; [unrolled: 1-line block ×6, first 2 shown]
	v_pk_mov_b32 v[0:1], s[8:9], s[8:9] op_sel:[0,1]
	s_subb_u32 s37, s27, s39
	v_cmp_gt_i64_e32 vcc, s[38:39], v[16:17]
	v_pk_mov_b32 v[2:3], s[10:11], s[10:11] op_sel:[0,1]
	v_pk_mov_b32 v[4:5], s[12:13], s[12:13] op_sel:[0,1]
	;; [unrolled: 1-line block ×3, first 2 shown]
	v_or_b32_e32 v20, 64, v18
	s_and_saveexec_b64 s[40:41], vcc
	s_cbranch_execz .LBB32_28
; %bb.1:
	v_or_b32_e32 v0, 0x80, v18
	v_mov_b32_e32 v1, v19
	v_cmp_gt_i64_e64 s[4:5], s[24:25], v[0:1]
	v_or_b32_e32 v0, 0xc0, v18
	v_cmp_gt_i64_e64 s[6:7], s[24:25], v[0:1]
	v_add_co_u32_e32 v0, vcc, s33, v38
	v_addc_co_u32_e64 v1, s[16:17], 0, 0, vcc
	v_mul_lo_u32 v4, s31, v0
	v_mul_lo_u32 v5, s30, v1
	v_mad_u64_u32 v[2:3], s[16:17], s30, v0, 0
	v_add3_u32 v3, v3, v5, v4
	v_lshrrev_b32_e32 v5, 6, v37
	v_lshlrev_b64 v[2:3], 3, v[2:3]
	v_lshlrev_b32_e32 v4, 5, v5
	v_mov_b32_e32 v21, v19
	v_add_co_u32_e32 v22, vcc, v2, v4
	v_cmp_gt_i64_e64 s[2:3], s[24:25], v[20:21]
	v_addc_co_u32_e32 v21, vcc, 0, v3, vcc
	v_add_co_u32_e32 v2, vcc, 64, v0
	v_addc_co_u32_e32 v3, vcc, 0, v1, vcc
	v_mul_lo_u32 v6, s31, v2
	v_mul_lo_u32 v7, s30, v3
	v_mad_u64_u32 v[2:3], s[16:17], s30, v2, 0
	v_add3_u32 v3, v3, v7, v6
	v_lshlrev_b64 v[2:3], 3, v[2:3]
	v_add_co_u32_e32 v24, vcc, v2, v4
	s_movk_i32 s18, 0x80
	v_addc_co_u32_e32 v23, vcc, 0, v3, vcc
	v_add_co_u32_e32 v2, vcc, s18, v0
	v_addc_co_u32_e32 v3, vcc, 0, v1, vcc
	v_mul_lo_u32 v6, s31, v2
	v_mul_lo_u32 v7, s30, v3
	v_mad_u64_u32 v[2:3], s[16:17], s30, v2, 0
	v_add3_u32 v3, v3, v7, v6
	v_lshlrev_b64 v[2:3], 3, v[2:3]
	v_add_co_u32_e32 v26, vcc, v2, v4
	s_movk_i32 s19, 0xc0
	v_addc_co_u32_e32 v25, vcc, 0, v3, vcc
	v_add_co_u32_e32 v2, vcc, s19, v0
	v_addc_co_u32_e32 v3, vcc, 0, v1, vcc
	v_mul_lo_u32 v6, s31, v2
	v_mul_lo_u32 v7, s30, v3
	v_mad_u64_u32 v[2:3], s[16:17], s30, v2, 0
	v_add3_u32 v3, v3, v7, v6
	v_lshlrev_b64 v[2:3], 3, v[2:3]
	v_add_co_u32_e32 v28, vcc, v2, v4
	v_addc_co_u32_e32 v27, vcc, 0, v3, vcc
	v_or_b32_e32 v3, 24, v4
	v_lshlrev_b64 v[0:1], 3, v[0:1]
	v_mad_u64_u32 v[30:31], s[16:17], s30, v3, v[0:1]
	v_mov_b32_e32 v2, v31
	v_mad_u64_u32 v[2:3], s[16:17], s31, v3, v[2:3]
	v_or_b32_e32 v3, 16, v4
	v_mad_u64_u32 v[32:33], s[16:17], s30, v3, v[0:1]
	v_mov_b32_e32 v29, v2
	v_mov_b32_e32 v2, v33
	v_mad_u64_u32 v[2:3], s[16:17], s31, v3, v[2:3]
	v_or_b32_e32 v3, 8, v4
	v_mad_u64_u32 v[34:35], s[16:17], s30, v3, v[0:1]
	v_mov_b32_e32 v31, v2
	v_mov_b32_e32 v2, v35
	v_mad_u64_u32 v[2:3], s[16:17], s31, v3, v[2:3]
	v_mov_b32_e32 v33, v2
	v_mad_u64_u32 v[2:3], s[16:17], s30, v5, 0
	v_mov_b32_e32 v4, v3
	v_mad_u64_u32 v[4:5], s[16:17], s31, v5, v[4:5]
	v_mov_b32_e32 v3, v4
	v_lshlrev_b64 v[2:3], 5, v[2:3]
	v_add_co_u32_e32 v36, vcc, v2, v0
	s_cmp_lg_u32 s50, 1
	v_addc_co_u32_e32 v35, vcc, v3, v1, vcc
	v_pk_mov_b32 v[0:1], s[8:9], s[8:9] op_sel:[0,1]
	s_cselect_b64 s[42:43], -1, 0
	v_cmp_gt_i64_e64 s[0:1], s[24:25], v[18:19]
	s_lshl_b64 s[44:45], s[30:31], 9
	s_mov_b64 s[46:47], 0
	v_pk_mov_b32 v[2:3], s[10:11], s[10:11] op_sel:[0,1]
	v_pk_mov_b32 v[4:5], s[12:13], s[12:13] op_sel:[0,1]
	;; [unrolled: 1-line block ×3, first 2 shown]
	s_branch .LBB32_4
.LBB32_2:                               ;   in Loop: Header=BB32_4 Depth=1
	v_pk_mov_b32 v[0:1], v[8:9], v[8:9] op_sel:[0,1]
	v_pk_mov_b32 v[2:3], v[10:11], v[10:11] op_sel:[0,1]
	;; [unrolled: 1-line block ×4, first 2 shown]
.LBB32_3:                               ;   in Loop: Header=BB32_4 Depth=1
	s_or_b64 exec, exec, s[22:23]
	v_add_co_u32_e32 v16, vcc, 64, v16
	v_addc_co_u32_e32 v17, vcc, 0, v17, vcc
	v_add_co_u32_e32 v22, vcc, 0x200, v22
	v_addc_co_u32_e32 v21, vcc, 0, v21, vcc
	;; [unrolled: 2-line block ×5, first 2 shown]
	v_mov_b32_e32 v8, s45
	v_add_co_u32_e32 v30, vcc, s44, v30
	v_addc_co_u32_e32 v29, vcc, v29, v8, vcc
	v_add_co_u32_e32 v32, vcc, s44, v32
	v_addc_co_u32_e32 v31, vcc, v31, v8, vcc
	;; [unrolled: 2-line block ×3, first 2 shown]
	v_cmp_le_i64_e32 vcc, s[38:39], v[16:17]
	s_or_b64 s[46:47], vcc, s[46:47]
	v_add_co_u32_e32 v36, vcc, s44, v36
	v_addc_co_u32_e32 v35, vcc, v35, v8, vcc
	s_andn2_b64 exec, exec, s[46:47]
	s_cbranch_execz .LBB32_27
.LBB32_4:                               ; =>This Inner Loop Header: Depth=1
	v_cndmask_b32_e64 v8, 0, 1, s[42:43]
	v_cmp_ne_u32_e64 s[8:9], 1, v8
	s_and_saveexec_b64 s[48:49], s[0:1]
	s_cbranch_execnz .LBB32_8
; %bb.5:                                ;   in Loop: Header=BB32_4 Depth=1
	s_or_b64 exec, exec, s[48:49]
	s_and_saveexec_b64 s[48:49], s[2:3]
	s_cbranch_execnz .LBB32_13
.LBB32_6:                               ;   in Loop: Header=BB32_4 Depth=1
	s_or_b64 exec, exec, s[48:49]
	s_and_saveexec_b64 s[48:49], s[4:5]
	s_cbranch_execnz .LBB32_18
.LBB32_7:                               ;   in Loop: Header=BB32_4 Depth=1
	s_or_b64 exec, exec, s[48:49]
	s_and_saveexec_b64 s[22:23], s[6:7]
	s_cbranch_execz .LBB32_3
	s_branch .LBB32_23
.LBB32_8:                               ;   in Loop: Header=BB32_4 Depth=1
	s_and_b64 vcc, exec, s[8:9]
	s_cbranch_vccnz .LBB32_10
; %bb.9:                                ;   in Loop: Header=BB32_4 Depth=1
	v_mov_b32_e32 v9, s29
	v_add_co_u32_e32 v8, vcc, s28, v22
	v_addc_co_u32_e32 v9, vcc, v9, v21, vcc
	global_load_dwordx4 v[40:43], v[8:9], off
	global_load_dwordx4 v[44:47], v[8:9], off offset:16
	v_add_co_u32_e32 v8, vcc, 1, v0
	v_addc_co_u32_e32 v9, vcc, 0, v1, vcc
	v_mov_b32_e32 v10, v2
	v_mov_b32_e32 v11, v3
	;; [unrolled: 1-line block ×6, first 2 shown]
	s_waitcnt vmcnt(1)
	v_cmp_neq_f32_e32 vcc, 0, v40
	v_cmp_neq_f32_e64 s[10:11], 0, v41
	s_or_b64 vcc, vcc, s[10:11]
	v_cndmask_b32_e32 v8, v0, v8, vcc
	v_cndmask_b32_e32 v9, v1, v9, vcc
	v_add_co_u32_e32 v39, vcc, 1, v8
	v_cmp_neq_f32_e64 s[12:13], 0, v42
	v_cmp_neq_f32_e64 s[14:15], 0, v43
	v_addc_co_u32_e32 v40, vcc, 0, v9, vcc
	s_or_b64 vcc, s[12:13], s[14:15]
	v_cndmask_b32_e32 v8, v8, v39, vcc
	v_cndmask_b32_e32 v9, v9, v40, vcc
	v_add_co_u32_e32 v39, vcc, 1, v8
	s_waitcnt vmcnt(0)
	v_cmp_neq_f32_e64 s[16:17], 0, v44
	v_cmp_neq_f32_e64 s[18:19], 0, v45
	v_addc_co_u32_e32 v40, vcc, 0, v9, vcc
	s_or_b64 vcc, s[16:17], s[18:19]
	v_cndmask_b32_e32 v8, v8, v39, vcc
	v_cndmask_b32_e32 v9, v9, v40, vcc
	v_add_co_u32_e32 v39, vcc, 1, v8
	v_cmp_neq_f32_e64 s[20:21], 0, v46
	v_cmp_neq_f32_e64 s[22:23], 0, v47
	v_addc_co_u32_e32 v40, vcc, 0, v9, vcc
	s_or_b64 vcc, s[20:21], s[22:23]
	v_cndmask_b32_e32 v9, v9, v40, vcc
	v_cndmask_b32_e32 v8, v8, v39, vcc
	s_cbranch_execz .LBB32_11
	s_branch .LBB32_12
.LBB32_10:                              ;   in Loop: Header=BB32_4 Depth=1
                                        ; implicit-def: $vgpr8_vgpr9_vgpr10_vgpr11_vgpr12_vgpr13_vgpr14_vgpr15
.LBB32_11:                              ;   in Loop: Header=BB32_4 Depth=1
	v_mov_b32_e32 v39, s29
	v_add_co_u32_e32 v8, vcc, s28, v36
	v_addc_co_u32_e32 v9, vcc, v39, v35, vcc
	v_add_co_u32_e32 v10, vcc, s28, v34
	v_addc_co_u32_e32 v11, vcc, v39, v33, vcc
	;; [unrolled: 2-line block ×3, first 2 shown]
	global_load_dwordx2 v[14:15], v[8:9], off
	global_load_dwordx2 v[40:41], v[10:11], off
	;; [unrolled: 1-line block ×3, first 2 shown]
	v_add_co_u32_e32 v8, vcc, s28, v30
	v_addc_co_u32_e32 v9, vcc, v39, v29, vcc
	global_load_dwordx2 v[8:9], v[8:9], off
	v_add_co_u32_e32 v10, vcc, 1, v0
	v_addc_co_u32_e32 v11, vcc, 0, v1, vcc
	s_waitcnt vmcnt(3)
	v_cmp_neq_f32_e32 vcc, 0, v14
	v_cmp_neq_f32_e64 s[10:11], 0, v15
	s_or_b64 vcc, vcc, s[10:11]
	v_cndmask_b32_e32 v0, v0, v10, vcc
	v_cndmask_b32_e32 v1, v1, v11, vcc
	s_waitcnt vmcnt(2)
	v_cmp_neq_f32_e64 s[12:13], 0, v40
	v_cmp_neq_f32_e64 s[14:15], 0, v41
	s_waitcnt vmcnt(0)
	v_cmp_neq_f32_e64 s[20:21], 0, v8
	v_add_co_u32_e32 v8, vcc, 1, v0
	v_cmp_neq_f32_e64 s[22:23], 0, v9
	v_addc_co_u32_e32 v9, vcc, 0, v1, vcc
	s_or_b64 vcc, s[12:13], s[14:15]
	v_cndmask_b32_e32 v0, v0, v8, vcc
	v_cndmask_b32_e32 v1, v1, v9, vcc
	v_add_co_u32_e32 v8, vcc, 1, v0
	v_cmp_neq_f32_e64 s[16:17], 0, v42
	v_cmp_neq_f32_e64 s[18:19], 0, v43
	v_addc_co_u32_e32 v9, vcc, 0, v1, vcc
	s_or_b64 vcc, s[16:17], s[18:19]
	v_cndmask_b32_e32 v0, v0, v8, vcc
	v_cndmask_b32_e32 v1, v1, v9, vcc
	v_add_co_u32_e32 v8, vcc, 1, v0
	v_addc_co_u32_e32 v9, vcc, 0, v1, vcc
	s_or_b64 vcc, s[20:21], s[22:23]
	v_cndmask_b32_e32 v1, v1, v9, vcc
	v_cndmask_b32_e32 v0, v0, v8, vcc
	v_pk_mov_b32 v[14:15], v[6:7], v[6:7] op_sel:[0,1]
	v_pk_mov_b32 v[12:13], v[4:5], v[4:5] op_sel:[0,1]
	;; [unrolled: 1-line block ×4, first 2 shown]
.LBB32_12:                              ;   in Loop: Header=BB32_4 Depth=1
	v_pk_mov_b32 v[0:1], v[8:9], v[8:9] op_sel:[0,1]
	v_pk_mov_b32 v[2:3], v[10:11], v[10:11] op_sel:[0,1]
	;; [unrolled: 1-line block ×4, first 2 shown]
	s_or_b64 exec, exec, s[48:49]
	s_and_saveexec_b64 s[48:49], s[2:3]
	s_cbranch_execz .LBB32_6
.LBB32_13:                              ;   in Loop: Header=BB32_4 Depth=1
	s_and_b64 vcc, exec, s[8:9]
	s_cbranch_vccnz .LBB32_15
; %bb.14:                               ;   in Loop: Header=BB32_4 Depth=1
	v_mov_b32_e32 v9, s29
	v_add_co_u32_e32 v8, vcc, s28, v24
	v_addc_co_u32_e32 v9, vcc, v9, v23, vcc
	global_load_dwordx4 v[40:43], v[8:9], off
	global_load_dwordx4 v[44:47], v[8:9], off offset:16
	v_add_co_u32_e32 v10, vcc, 1, v2
	v_addc_co_u32_e32 v11, vcc, 0, v3, vcc
	v_mov_b32_e32 v8, v0
	v_mov_b32_e32 v9, v1
	;; [unrolled: 1-line block ×6, first 2 shown]
	s_waitcnt vmcnt(1)
	v_cmp_neq_f32_e32 vcc, 0, v40
	v_cmp_neq_f32_e64 s[10:11], 0, v41
	s_or_b64 vcc, vcc, s[10:11]
	v_cndmask_b32_e32 v10, v2, v10, vcc
	v_cndmask_b32_e32 v11, v3, v11, vcc
	v_add_co_u32_e32 v39, vcc, 1, v10
	v_cmp_neq_f32_e64 s[12:13], 0, v42
	v_cmp_neq_f32_e64 s[14:15], 0, v43
	v_addc_co_u32_e32 v40, vcc, 0, v11, vcc
	s_or_b64 vcc, s[12:13], s[14:15]
	v_cndmask_b32_e32 v10, v10, v39, vcc
	v_cndmask_b32_e32 v11, v11, v40, vcc
	v_add_co_u32_e32 v39, vcc, 1, v10
	s_waitcnt vmcnt(0)
	v_cmp_neq_f32_e64 s[16:17], 0, v44
	v_cmp_neq_f32_e64 s[18:19], 0, v45
	v_addc_co_u32_e32 v40, vcc, 0, v11, vcc
	s_or_b64 vcc, s[16:17], s[18:19]
	v_cndmask_b32_e32 v10, v10, v39, vcc
	v_cndmask_b32_e32 v11, v11, v40, vcc
	v_add_co_u32_e32 v39, vcc, 1, v10
	v_cmp_neq_f32_e64 s[20:21], 0, v46
	v_cmp_neq_f32_e64 s[22:23], 0, v47
	v_addc_co_u32_e32 v40, vcc, 0, v11, vcc
	s_or_b64 vcc, s[20:21], s[22:23]
	v_cndmask_b32_e32 v11, v11, v40, vcc
	v_cndmask_b32_e32 v10, v10, v39, vcc
	s_cbranch_execz .LBB32_16
	s_branch .LBB32_17
.LBB32_15:                              ;   in Loop: Header=BB32_4 Depth=1
                                        ; implicit-def: $vgpr8_vgpr9_vgpr10_vgpr11_vgpr12_vgpr13_vgpr14_vgpr15
.LBB32_16:                              ;   in Loop: Header=BB32_4 Depth=1
	v_mov_b32_e32 v39, s29
	v_add_co_u32_e32 v8, vcc, s28, v36
	v_addc_co_u32_e32 v9, vcc, v39, v35, vcc
	v_add_co_u32_e32 v10, vcc, s28, v34
	v_addc_co_u32_e32 v11, vcc, v39, v33, vcc
	v_add_co_u32_e32 v12, vcc, s28, v32
	v_addc_co_u32_e32 v13, vcc, v39, v31, vcc
	global_load_dwordx2 v[14:15], v[8:9], off offset:512
	global_load_dwordx2 v[40:41], v[10:11], off offset:512
	global_load_dwordx2 v[42:43], v[12:13], off offset:512
	v_add_co_u32_e32 v8, vcc, s28, v30
	v_addc_co_u32_e32 v9, vcc, v39, v29, vcc
	global_load_dwordx2 v[8:9], v[8:9], off offset:512
	v_add_co_u32_e32 v10, vcc, 1, v2
	v_addc_co_u32_e32 v11, vcc, 0, v3, vcc
	s_waitcnt vmcnt(3)
	v_cmp_neq_f32_e32 vcc, 0, v14
	v_cmp_neq_f32_e64 s[10:11], 0, v15
	s_or_b64 vcc, vcc, s[10:11]
	v_cndmask_b32_e32 v2, v2, v10, vcc
	v_cndmask_b32_e32 v3, v3, v11, vcc
	s_waitcnt vmcnt(2)
	v_cmp_neq_f32_e64 s[12:13], 0, v40
	v_cmp_neq_f32_e64 s[14:15], 0, v41
	s_waitcnt vmcnt(0)
	v_cmp_neq_f32_e64 s[20:21], 0, v8
	v_add_co_u32_e32 v8, vcc, 1, v2
	v_cmp_neq_f32_e64 s[22:23], 0, v9
	v_addc_co_u32_e32 v9, vcc, 0, v3, vcc
	s_or_b64 vcc, s[12:13], s[14:15]
	v_cndmask_b32_e32 v2, v2, v8, vcc
	v_cndmask_b32_e32 v3, v3, v9, vcc
	v_add_co_u32_e32 v8, vcc, 1, v2
	v_cmp_neq_f32_e64 s[16:17], 0, v42
	v_cmp_neq_f32_e64 s[18:19], 0, v43
	v_addc_co_u32_e32 v9, vcc, 0, v3, vcc
	s_or_b64 vcc, s[16:17], s[18:19]
	v_cndmask_b32_e32 v2, v2, v8, vcc
	v_cndmask_b32_e32 v3, v3, v9, vcc
	v_add_co_u32_e32 v8, vcc, 1, v2
	v_addc_co_u32_e32 v9, vcc, 0, v3, vcc
	s_or_b64 vcc, s[20:21], s[22:23]
	v_cndmask_b32_e32 v3, v3, v9, vcc
	v_cndmask_b32_e32 v2, v2, v8, vcc
	v_pk_mov_b32 v[14:15], v[6:7], v[6:7] op_sel:[0,1]
	v_pk_mov_b32 v[12:13], v[4:5], v[4:5] op_sel:[0,1]
	;; [unrolled: 1-line block ×4, first 2 shown]
.LBB32_17:                              ;   in Loop: Header=BB32_4 Depth=1
	v_pk_mov_b32 v[0:1], v[8:9], v[8:9] op_sel:[0,1]
	v_pk_mov_b32 v[2:3], v[10:11], v[10:11] op_sel:[0,1]
	;; [unrolled: 1-line block ×4, first 2 shown]
	s_or_b64 exec, exec, s[48:49]
	s_and_saveexec_b64 s[48:49], s[4:5]
	s_cbranch_execz .LBB32_7
.LBB32_18:                              ;   in Loop: Header=BB32_4 Depth=1
	s_and_b64 vcc, exec, s[8:9]
	s_cbranch_vccnz .LBB32_20
; %bb.19:                               ;   in Loop: Header=BB32_4 Depth=1
	v_mov_b32_e32 v9, s29
	v_add_co_u32_e32 v8, vcc, s28, v26
	v_addc_co_u32_e32 v9, vcc, v9, v25, vcc
	global_load_dwordx4 v[40:43], v[8:9], off
	global_load_dwordx4 v[44:47], v[8:9], off offset:16
	v_add_co_u32_e32 v12, vcc, 1, v4
	v_addc_co_u32_e32 v13, vcc, 0, v5, vcc
	v_mov_b32_e32 v8, v0
	v_mov_b32_e32 v9, v1
	;; [unrolled: 1-line block ×6, first 2 shown]
	s_waitcnt vmcnt(1)
	v_cmp_neq_f32_e32 vcc, 0, v40
	v_cmp_neq_f32_e64 s[10:11], 0, v41
	s_or_b64 vcc, vcc, s[10:11]
	v_cndmask_b32_e32 v12, v4, v12, vcc
	v_cndmask_b32_e32 v13, v5, v13, vcc
	v_add_co_u32_e32 v39, vcc, 1, v12
	v_cmp_neq_f32_e64 s[12:13], 0, v42
	v_cmp_neq_f32_e64 s[14:15], 0, v43
	v_addc_co_u32_e32 v40, vcc, 0, v13, vcc
	s_or_b64 vcc, s[12:13], s[14:15]
	v_cndmask_b32_e32 v12, v12, v39, vcc
	v_cndmask_b32_e32 v13, v13, v40, vcc
	v_add_co_u32_e32 v39, vcc, 1, v12
	s_waitcnt vmcnt(0)
	v_cmp_neq_f32_e64 s[16:17], 0, v44
	v_cmp_neq_f32_e64 s[18:19], 0, v45
	v_addc_co_u32_e32 v40, vcc, 0, v13, vcc
	s_or_b64 vcc, s[16:17], s[18:19]
	v_cndmask_b32_e32 v12, v12, v39, vcc
	v_cndmask_b32_e32 v13, v13, v40, vcc
	v_add_co_u32_e32 v39, vcc, 1, v12
	v_cmp_neq_f32_e64 s[20:21], 0, v46
	v_cmp_neq_f32_e64 s[22:23], 0, v47
	v_addc_co_u32_e32 v40, vcc, 0, v13, vcc
	s_or_b64 vcc, s[20:21], s[22:23]
	v_cndmask_b32_e32 v13, v13, v40, vcc
	v_cndmask_b32_e32 v12, v12, v39, vcc
	s_cbranch_execz .LBB32_21
	s_branch .LBB32_22
.LBB32_20:                              ;   in Loop: Header=BB32_4 Depth=1
                                        ; implicit-def: $vgpr8_vgpr9_vgpr10_vgpr11_vgpr12_vgpr13_vgpr14_vgpr15
.LBB32_21:                              ;   in Loop: Header=BB32_4 Depth=1
	v_mov_b32_e32 v39, s29
	v_add_co_u32_e32 v8, vcc, s28, v36
	v_addc_co_u32_e32 v9, vcc, v39, v35, vcc
	v_add_co_u32_e32 v10, vcc, s28, v34
	v_addc_co_u32_e32 v11, vcc, v39, v33, vcc
	v_add_co_u32_e32 v12, vcc, s28, v32
	v_addc_co_u32_e32 v13, vcc, v39, v31, vcc
	global_load_dwordx2 v[14:15], v[8:9], off offset:1024
	global_load_dwordx2 v[40:41], v[10:11], off offset:1024
	;; [unrolled: 1-line block ×3, first 2 shown]
	v_add_co_u32_e32 v8, vcc, s28, v30
	v_addc_co_u32_e32 v9, vcc, v39, v29, vcc
	global_load_dwordx2 v[8:9], v[8:9], off offset:1024
	v_add_co_u32_e32 v10, vcc, 1, v4
	v_addc_co_u32_e32 v11, vcc, 0, v5, vcc
	s_waitcnt vmcnt(3)
	v_cmp_neq_f32_e32 vcc, 0, v14
	v_cmp_neq_f32_e64 s[10:11], 0, v15
	s_or_b64 vcc, vcc, s[10:11]
	v_cndmask_b32_e32 v4, v4, v10, vcc
	v_cndmask_b32_e32 v5, v5, v11, vcc
	s_waitcnt vmcnt(2)
	v_cmp_neq_f32_e64 s[12:13], 0, v40
	v_cmp_neq_f32_e64 s[14:15], 0, v41
	s_waitcnt vmcnt(0)
	v_cmp_neq_f32_e64 s[20:21], 0, v8
	v_add_co_u32_e32 v8, vcc, 1, v4
	v_cmp_neq_f32_e64 s[22:23], 0, v9
	v_addc_co_u32_e32 v9, vcc, 0, v5, vcc
	s_or_b64 vcc, s[12:13], s[14:15]
	v_cndmask_b32_e32 v4, v4, v8, vcc
	v_cndmask_b32_e32 v5, v5, v9, vcc
	v_add_co_u32_e32 v8, vcc, 1, v4
	v_cmp_neq_f32_e64 s[16:17], 0, v42
	v_cmp_neq_f32_e64 s[18:19], 0, v43
	v_addc_co_u32_e32 v9, vcc, 0, v5, vcc
	s_or_b64 vcc, s[16:17], s[18:19]
	v_cndmask_b32_e32 v4, v4, v8, vcc
	v_cndmask_b32_e32 v5, v5, v9, vcc
	v_add_co_u32_e32 v8, vcc, 1, v4
	v_addc_co_u32_e32 v9, vcc, 0, v5, vcc
	s_or_b64 vcc, s[20:21], s[22:23]
	v_cndmask_b32_e32 v5, v5, v9, vcc
	v_cndmask_b32_e32 v4, v4, v8, vcc
	v_pk_mov_b32 v[14:15], v[6:7], v[6:7] op_sel:[0,1]
	v_pk_mov_b32 v[12:13], v[4:5], v[4:5] op_sel:[0,1]
	;; [unrolled: 1-line block ×4, first 2 shown]
.LBB32_22:                              ;   in Loop: Header=BB32_4 Depth=1
	v_pk_mov_b32 v[0:1], v[8:9], v[8:9] op_sel:[0,1]
	v_pk_mov_b32 v[2:3], v[10:11], v[10:11] op_sel:[0,1]
	;; [unrolled: 1-line block ×4, first 2 shown]
	s_or_b64 exec, exec, s[48:49]
	s_and_saveexec_b64 s[22:23], s[6:7]
	s_cbranch_execz .LBB32_3
.LBB32_23:                              ;   in Loop: Header=BB32_4 Depth=1
	s_and_b64 vcc, exec, s[8:9]
	s_cbranch_vccnz .LBB32_25
; %bb.24:                               ;   in Loop: Header=BB32_4 Depth=1
	v_mov_b32_e32 v9, s29
	v_add_co_u32_e32 v8, vcc, s28, v28
	v_addc_co_u32_e32 v9, vcc, v9, v27, vcc
	global_load_dwordx4 v[40:43], v[8:9], off
	global_load_dwordx4 v[44:47], v[8:9], off offset:16
	v_add_co_u32_e32 v14, vcc, 1, v6
	v_addc_co_u32_e32 v15, vcc, 0, v7, vcc
	v_mov_b32_e32 v8, v0
	v_mov_b32_e32 v9, v1
	;; [unrolled: 1-line block ×6, first 2 shown]
	s_waitcnt vmcnt(1)
	v_cmp_neq_f32_e32 vcc, 0, v40
	v_cmp_neq_f32_e64 s[8:9], 0, v41
	s_or_b64 vcc, vcc, s[8:9]
	v_cndmask_b32_e32 v14, v6, v14, vcc
	v_cndmask_b32_e32 v15, v7, v15, vcc
	v_add_co_u32_e32 v39, vcc, 1, v14
	v_cmp_neq_f32_e64 s[10:11], 0, v42
	v_cmp_neq_f32_e64 s[12:13], 0, v43
	v_addc_co_u32_e32 v40, vcc, 0, v15, vcc
	s_or_b64 vcc, s[10:11], s[12:13]
	v_cndmask_b32_e32 v14, v14, v39, vcc
	v_cndmask_b32_e32 v15, v15, v40, vcc
	v_add_co_u32_e32 v39, vcc, 1, v14
	s_waitcnt vmcnt(0)
	v_cmp_neq_f32_e64 s[14:15], 0, v44
	v_cmp_neq_f32_e64 s[16:17], 0, v45
	v_addc_co_u32_e32 v40, vcc, 0, v15, vcc
	s_or_b64 vcc, s[14:15], s[16:17]
	v_cndmask_b32_e32 v14, v14, v39, vcc
	v_cndmask_b32_e32 v15, v15, v40, vcc
	v_add_co_u32_e32 v39, vcc, 1, v14
	v_cmp_neq_f32_e64 s[18:19], 0, v46
	v_cmp_neq_f32_e64 s[20:21], 0, v47
	v_addc_co_u32_e32 v40, vcc, 0, v15, vcc
	s_or_b64 vcc, s[18:19], s[20:21]
	v_cndmask_b32_e32 v15, v15, v40, vcc
	v_cndmask_b32_e32 v14, v14, v39, vcc
	s_cbranch_execnz .LBB32_2
	s_branch .LBB32_26
.LBB32_25:                              ;   in Loop: Header=BB32_4 Depth=1
                                        ; implicit-def: $vgpr8_vgpr9_vgpr10_vgpr11_vgpr12_vgpr13_vgpr14_vgpr15
.LBB32_26:                              ;   in Loop: Header=BB32_4 Depth=1
	v_mov_b32_e32 v39, s29
	v_add_co_u32_e32 v8, vcc, s28, v36
	v_addc_co_u32_e32 v9, vcc, v39, v35, vcc
	v_add_co_u32_e32 v10, vcc, s28, v34
	v_addc_co_u32_e32 v11, vcc, v39, v33, vcc
	;; [unrolled: 2-line block ×3, first 2 shown]
	global_load_dwordx2 v[14:15], v[8:9], off offset:1536
	global_load_dwordx2 v[40:41], v[10:11], off offset:1536
	;; [unrolled: 1-line block ×3, first 2 shown]
	v_add_co_u32_e32 v8, vcc, s28, v30
	v_addc_co_u32_e32 v9, vcc, v39, v29, vcc
	global_load_dwordx2 v[8:9], v[8:9], off offset:1536
	v_add_co_u32_e32 v10, vcc, 1, v6
	v_addc_co_u32_e32 v11, vcc, 0, v7, vcc
	s_waitcnt vmcnt(3)
	v_cmp_neq_f32_e32 vcc, 0, v14
	v_cmp_neq_f32_e64 s[8:9], 0, v15
	s_or_b64 vcc, vcc, s[8:9]
	v_cndmask_b32_e32 v6, v6, v10, vcc
	v_cndmask_b32_e32 v7, v7, v11, vcc
	s_waitcnt vmcnt(2)
	v_cmp_neq_f32_e64 s[10:11], 0, v40
	v_cmp_neq_f32_e64 s[12:13], 0, v41
	s_waitcnt vmcnt(0)
	v_cmp_neq_f32_e64 s[18:19], 0, v8
	v_add_co_u32_e32 v8, vcc, 1, v6
	v_cmp_neq_f32_e64 s[20:21], 0, v9
	v_addc_co_u32_e32 v9, vcc, 0, v7, vcc
	s_or_b64 vcc, s[10:11], s[12:13]
	v_cndmask_b32_e32 v6, v6, v8, vcc
	v_cndmask_b32_e32 v7, v7, v9, vcc
	v_add_co_u32_e32 v8, vcc, 1, v6
	v_cmp_neq_f32_e64 s[14:15], 0, v42
	v_cmp_neq_f32_e64 s[16:17], 0, v43
	v_addc_co_u32_e32 v9, vcc, 0, v7, vcc
	s_or_b64 vcc, s[14:15], s[16:17]
	v_cndmask_b32_e32 v6, v6, v8, vcc
	v_cndmask_b32_e32 v7, v7, v9, vcc
	v_add_co_u32_e32 v8, vcc, 1, v6
	v_addc_co_u32_e32 v9, vcc, 0, v7, vcc
	s_or_b64 vcc, s[18:19], s[20:21]
	v_cndmask_b32_e32 v7, v7, v9, vcc
	v_cndmask_b32_e32 v6, v6, v8, vcc
	v_pk_mov_b32 v[14:15], v[6:7], v[6:7] op_sel:[0,1]
	v_pk_mov_b32 v[12:13], v[4:5], v[4:5] op_sel:[0,1]
	;; [unrolled: 1-line block ×4, first 2 shown]
	s_branch .LBB32_2
.LBB32_27:
	s_or_b64 exec, exec, s[46:47]
.LBB32_28:
	s_or_b64 exec, exec, s[40:41]
	v_cmp_lt_i64_e64 s[0:1], s[36:37], 1
	s_and_b64 vcc, exec, s[0:1]
	s_cbranch_vccnz .LBB32_126
; %bb.29:
	v_lshlrev_b64 v[8:9], 3, v[16:17]
	v_mov_b32_e32 v10, s29
	v_add_co_u32_e32 v24, vcc, s28, v8
	s_cmp_eq_u32 s50, 1
	v_addc_co_u32_e32 v25, vcc, v10, v9, vcc
	s_cselect_b64 s[4:5], -1, 0
	s_cmp_lg_u32 s50, 1
	s_cselect_b64 s[2:3], -1, 0
	v_cmp_gt_i64_e32 vcc, s[24:25], v[18:19]
	v_lshlrev_b64 v[8:9], 3, v[18:19]
	s_and_saveexec_b64 s[6:7], vcc
	s_cbranch_execz .LBB32_53
; %bb.30:
	v_mad_u64_u32 v[10:11], s[0:1], v18, s30, 0
	v_mov_b32_e32 v12, v11
	v_mad_u64_u32 v[12:13], s[0:1], v18, s31, v[12:13]
	v_mov_b32_e32 v11, v12
	v_lshlrev_b64 v[10:11], 3, v[10:11]
	v_add_co_u32_e32 v10, vcc, v24, v10
	v_addc_co_u32_e32 v11, vcc, v25, v11, vcc
	v_mov_b32_e32 v12, s29
	v_add_co_u32_e32 v21, vcc, s28, v8
	v_addc_co_u32_e32 v26, vcc, v12, v9, vcc
	v_cmp_gt_i64_e32 vcc, s[26:27], v[16:17]
	s_and_saveexec_b64 s[8:9], vcc
	s_cbranch_execz .LBB32_34
; %bb.31:
	s_andn2_b64 vcc, exec, s[4:5]
	v_pk_mov_b32 v[12:13], v[10:11], v[10:11] op_sel:[0,1]
	s_cbranch_vccnz .LBB32_33
; %bb.32:
	v_mul_lo_u32 v14, v17, s30
	v_mul_lo_u32 v15, v16, s31
	v_mad_u64_u32 v[12:13], s[0:1], v16, s30, 0
	v_add3_u32 v13, v13, v15, v14
	v_lshlrev_b64 v[12:13], 3, v[12:13]
	v_add_co_u32_e32 v12, vcc, v21, v12
	v_addc_co_u32_e32 v13, vcc, v26, v13, vcc
.LBB32_33:
	global_load_dwordx2 v[12:13], v[12:13], off
	s_waitcnt vmcnt(0)
	v_cmp_neq_f32_e32 vcc, 0, v12
	v_cmp_neq_f32_e64 s[0:1], 0, v13
	s_or_b64 s[0:1], vcc, s[0:1]
	v_cndmask_b32_e64 v12, 0, 1, s[0:1]
	v_add_co_u32_e32 v0, vcc, v0, v12
	v_addc_co_u32_e32 v1, vcc, 0, v1, vcc
.LBB32_34:
	s_or_b64 exec, exec, s[8:9]
	v_or_b32_e32 v12, 1, v16
	v_mov_b32_e32 v13, v17
	v_cmp_gt_i64_e32 vcc, s[26:27], v[12:13]
	s_and_saveexec_b64 s[8:9], vcc
	s_cbranch_execz .LBB32_40
; %bb.35:
	s_andn2_b64 vcc, exec, s[2:3]
	s_cbranch_vccnz .LBB32_37
; %bb.36:
	v_add_co_u32_e32 v14, vcc, 8, v10
	v_addc_co_u32_e32 v15, vcc, 0, v11, vcc
	v_add_co_u32_e32 v22, vcc, 12, v10
	v_addc_co_u32_e32 v23, vcc, 0, v11, vcc
	s_cbranch_execz .LBB32_38
	s_branch .LBB32_39
.LBB32_37:
                                        ; implicit-def: $vgpr14_vgpr15
                                        ; implicit-def: $vgpr22_vgpr23
.LBB32_38:
	v_mul_lo_u32 v14, v13, s30
	v_mul_lo_u32 v15, v12, s31
	v_mad_u64_u32 v[12:13], s[0:1], v12, s30, 0
	v_add3_u32 v13, v13, v15, v14
	v_lshlrev_b64 v[12:13], 3, v[12:13]
	v_add_co_u32_e32 v14, vcc, v21, v12
	v_addc_co_u32_e32 v15, vcc, v26, v13, vcc
	v_add_co_u32_e32 v22, vcc, 4, v14
	v_addc_co_u32_e32 v23, vcc, 0, v15, vcc
.LBB32_39:
	global_load_dword v12, v[14:15], off
	global_load_dword v13, v[22:23], off
	s_waitcnt vmcnt(1)
	v_cmp_neq_f32_e32 vcc, 0, v12
	s_waitcnt vmcnt(0)
	v_cmp_neq_f32_e64 s[0:1], 0, v13
	s_or_b64 s[0:1], vcc, s[0:1]
	v_cndmask_b32_e64 v12, 0, 1, s[0:1]
	v_add_co_u32_e32 v0, vcc, v0, v12
	v_addc_co_u32_e32 v1, vcc, 0, v1, vcc
.LBB32_40:
	s_or_b64 exec, exec, s[8:9]
	v_or_b32_e32 v12, 2, v16
	v_mov_b32_e32 v13, v17
	v_cmp_gt_i64_e32 vcc, s[26:27], v[12:13]
	s_and_saveexec_b64 s[8:9], vcc
	s_cbranch_execz .LBB32_46
; %bb.41:
	s_andn2_b64 vcc, exec, s[2:3]
	s_cbranch_vccnz .LBB32_43
; %bb.42:
	v_add_co_u32_e32 v14, vcc, 16, v10
	v_addc_co_u32_e32 v15, vcc, 0, v11, vcc
	v_add_co_u32_e32 v22, vcc, 20, v10
	v_addc_co_u32_e32 v23, vcc, 0, v11, vcc
	s_cbranch_execz .LBB32_44
	s_branch .LBB32_45
.LBB32_43:
                                        ; implicit-def: $vgpr14_vgpr15
                                        ; implicit-def: $vgpr22_vgpr23
.LBB32_44:
	v_mul_lo_u32 v14, v13, s30
	v_mul_lo_u32 v15, v12, s31
	v_mad_u64_u32 v[12:13], s[0:1], v12, s30, 0
	v_add3_u32 v13, v13, v15, v14
	v_lshlrev_b64 v[12:13], 3, v[12:13]
	v_add_co_u32_e32 v14, vcc, v21, v12
	v_addc_co_u32_e32 v15, vcc, v26, v13, vcc
	v_add_co_u32_e32 v22, vcc, 4, v14
	v_addc_co_u32_e32 v23, vcc, 0, v15, vcc
.LBB32_45:
	global_load_dword v12, v[14:15], off
	global_load_dword v13, v[22:23], off
	s_waitcnt vmcnt(1)
	v_cmp_neq_f32_e32 vcc, 0, v12
	s_waitcnt vmcnt(0)
	v_cmp_neq_f32_e64 s[0:1], 0, v13
	s_or_b64 s[0:1], vcc, s[0:1]
	v_cndmask_b32_e64 v12, 0, 1, s[0:1]
	v_add_co_u32_e32 v0, vcc, v0, v12
	v_addc_co_u32_e32 v1, vcc, 0, v1, vcc
.LBB32_46:
	s_or_b64 exec, exec, s[8:9]
	v_or_b32_e32 v12, 3, v16
	v_mov_b32_e32 v13, v17
	v_cmp_gt_i64_e32 vcc, s[26:27], v[12:13]
	s_and_saveexec_b64 s[8:9], vcc
	s_cbranch_execz .LBB32_52
; %bb.47:
	s_andn2_b64 vcc, exec, s[2:3]
	s_cbranch_vccnz .LBB32_49
; %bb.48:
	v_add_co_u32_e32 v14, vcc, 24, v10
	v_addc_co_u32_e32 v15, vcc, 0, v11, vcc
	v_add_co_u32_e32 v10, vcc, 28, v10
	v_addc_co_u32_e32 v11, vcc, 0, v11, vcc
	s_cbranch_execz .LBB32_50
	s_branch .LBB32_51
.LBB32_49:
                                        ; implicit-def: $vgpr14_vgpr15
                                        ; implicit-def: $vgpr10_vgpr11
.LBB32_50:
	v_mul_lo_u32 v13, v13, s30
	v_mul_lo_u32 v14, v12, s31
	v_mad_u64_u32 v[10:11], s[0:1], v12, s30, 0
	v_add3_u32 v11, v11, v14, v13
	v_lshlrev_b64 v[10:11], 3, v[10:11]
	v_add_co_u32_e32 v14, vcc, v21, v10
	v_addc_co_u32_e32 v15, vcc, v26, v11, vcc
	v_add_co_u32_e32 v10, vcc, 4, v14
	v_addc_co_u32_e32 v11, vcc, 0, v15, vcc
.LBB32_51:
	global_load_dword v12, v[14:15], off
	global_load_dword v13, v[10:11], off
	s_waitcnt vmcnt(1)
	v_cmp_neq_f32_e32 vcc, 0, v12
	s_waitcnt vmcnt(0)
	v_cmp_neq_f32_e64 s[0:1], 0, v13
	s_or_b64 s[0:1], vcc, s[0:1]
	v_cndmask_b32_e64 v10, 0, 1, s[0:1]
	v_add_co_u32_e32 v0, vcc, v0, v10
	v_addc_co_u32_e32 v1, vcc, 0, v1, vcc
.LBB32_52:
	s_or_b64 exec, exec, s[8:9]
.LBB32_53:
	s_or_b64 exec, exec, s[6:7]
	v_mov_b32_e32 v21, v19
	v_cmp_gt_i64_e32 vcc, s[24:25], v[20:21]
	s_and_saveexec_b64 s[6:7], vcc
	s_cbranch_execz .LBB32_77
; %bb.54:
	v_mad_u64_u32 v[10:11], s[0:1], v20, s30, 0
	v_mov_b32_e32 v12, v11
	v_mad_u64_u32 v[12:13], s[0:1], v20, s31, v[12:13]
	v_mov_b32_e32 v11, v12
	v_lshlrev_b64 v[10:11], 3, v[10:11]
	v_add_co_u32_e32 v10, vcc, v24, v10
	v_addc_co_u32_e32 v11, vcc, v25, v11, vcc
	v_mov_b32_e32 v12, s29
	v_add_co_u32_e32 v22, vcc, s28, v8
	v_addc_co_u32_e32 v23, vcc, v12, v9, vcc
	v_cmp_gt_i64_e32 vcc, s[26:27], v[16:17]
	s_and_saveexec_b64 s[8:9], vcc
	s_cbranch_execz .LBB32_58
; %bb.55:
	s_andn2_b64 vcc, exec, s[4:5]
	v_pk_mov_b32 v[12:13], v[10:11], v[10:11] op_sel:[0,1]
	s_cbranch_vccnz .LBB32_57
; %bb.56:
	v_mul_lo_u32 v14, v17, s30
	v_mul_lo_u32 v15, v16, s31
	v_mad_u64_u32 v[12:13], s[0:1], v16, s30, 0
	v_add3_u32 v13, v13, v15, v14
	v_lshlrev_b64 v[12:13], 3, v[12:13]
	v_add_co_u32_e32 v12, vcc, v22, v12
	v_addc_co_u32_e32 v13, vcc, v23, v13, vcc
	v_add_co_u32_e32 v12, vcc, 0x200, v12
	v_addc_co_u32_e32 v13, vcc, 0, v13, vcc
.LBB32_57:
	global_load_dwordx2 v[12:13], v[12:13], off
	s_waitcnt vmcnt(0)
	v_cmp_neq_f32_e32 vcc, 0, v12
	v_cmp_neq_f32_e64 s[0:1], 0, v13
	s_or_b64 s[0:1], vcc, s[0:1]
	v_cndmask_b32_e64 v12, 0, 1, s[0:1]
	v_add_co_u32_e32 v2, vcc, v2, v12
	v_addc_co_u32_e32 v3, vcc, 0, v3, vcc
.LBB32_58:
	s_or_b64 exec, exec, s[8:9]
	v_or_b32_e32 v12, 1, v16
	v_mov_b32_e32 v13, v17
	v_cmp_gt_i64_e32 vcc, s[26:27], v[12:13]
	s_and_saveexec_b64 s[8:9], vcc
	s_cbranch_execz .LBB32_64
; %bb.59:
	s_andn2_b64 vcc, exec, s[2:3]
	s_cbranch_vccnz .LBB32_61
; %bb.60:
	v_add_co_u32_e32 v14, vcc, 8, v10
	v_addc_co_u32_e32 v15, vcc, 0, v11, vcc
	v_add_co_u32_e32 v20, vcc, 12, v10
	v_addc_co_u32_e32 v21, vcc, 0, v11, vcc
	s_cbranch_execz .LBB32_62
	s_branch .LBB32_63
.LBB32_61:
                                        ; implicit-def: $vgpr14_vgpr15
                                        ; implicit-def: $vgpr20_vgpr21
.LBB32_62:
	v_mul_lo_u32 v14, v13, s30
	v_mul_lo_u32 v15, v12, s31
	v_mad_u64_u32 v[12:13], s[0:1], v12, s30, 0
	v_add3_u32 v13, v13, v15, v14
	v_lshlrev_b64 v[12:13], 3, v[12:13]
	v_add_co_u32_e32 v12, vcc, v22, v12
	v_addc_co_u32_e32 v13, vcc, v23, v13, vcc
	v_add_co_u32_e32 v14, vcc, 0x200, v12
	v_addc_co_u32_e32 v15, vcc, 0, v13, vcc
	;; [unrolled: 2-line block ×3, first 2 shown]
.LBB32_63:
	global_load_dword v12, v[14:15], off
	global_load_dword v13, v[20:21], off
	s_waitcnt vmcnt(1)
	v_cmp_neq_f32_e32 vcc, 0, v12
	s_waitcnt vmcnt(0)
	v_cmp_neq_f32_e64 s[0:1], 0, v13
	s_or_b64 s[0:1], vcc, s[0:1]
	v_cndmask_b32_e64 v12, 0, 1, s[0:1]
	v_add_co_u32_e32 v2, vcc, v2, v12
	v_addc_co_u32_e32 v3, vcc, 0, v3, vcc
.LBB32_64:
	s_or_b64 exec, exec, s[8:9]
	v_or_b32_e32 v12, 2, v16
	v_mov_b32_e32 v13, v17
	v_cmp_gt_i64_e32 vcc, s[26:27], v[12:13]
	s_and_saveexec_b64 s[8:9], vcc
	s_cbranch_execz .LBB32_70
; %bb.65:
	s_andn2_b64 vcc, exec, s[2:3]
	s_cbranch_vccnz .LBB32_67
; %bb.66:
	v_add_co_u32_e32 v14, vcc, 16, v10
	v_addc_co_u32_e32 v15, vcc, 0, v11, vcc
	v_add_co_u32_e32 v20, vcc, 20, v10
	v_addc_co_u32_e32 v21, vcc, 0, v11, vcc
	s_cbranch_execz .LBB32_68
	s_branch .LBB32_69
.LBB32_67:
                                        ; implicit-def: $vgpr14_vgpr15
                                        ; implicit-def: $vgpr20_vgpr21
.LBB32_68:
	v_mul_lo_u32 v14, v13, s30
	v_mul_lo_u32 v15, v12, s31
	v_mad_u64_u32 v[12:13], s[0:1], v12, s30, 0
	v_add3_u32 v13, v13, v15, v14
	v_lshlrev_b64 v[12:13], 3, v[12:13]
	v_add_co_u32_e32 v12, vcc, v22, v12
	v_addc_co_u32_e32 v13, vcc, v23, v13, vcc
	v_add_co_u32_e32 v14, vcc, 0x200, v12
	v_addc_co_u32_e32 v15, vcc, 0, v13, vcc
	;; [unrolled: 2-line block ×3, first 2 shown]
.LBB32_69:
	global_load_dword v12, v[14:15], off
	global_load_dword v13, v[20:21], off
	s_waitcnt vmcnt(1)
	v_cmp_neq_f32_e32 vcc, 0, v12
	s_waitcnt vmcnt(0)
	v_cmp_neq_f32_e64 s[0:1], 0, v13
	s_or_b64 s[0:1], vcc, s[0:1]
	v_cndmask_b32_e64 v12, 0, 1, s[0:1]
	v_add_co_u32_e32 v2, vcc, v2, v12
	v_addc_co_u32_e32 v3, vcc, 0, v3, vcc
.LBB32_70:
	s_or_b64 exec, exec, s[8:9]
	v_or_b32_e32 v12, 3, v16
	v_mov_b32_e32 v13, v17
	v_cmp_gt_i64_e32 vcc, s[26:27], v[12:13]
	s_and_saveexec_b64 s[8:9], vcc
	s_cbranch_execz .LBB32_76
; %bb.71:
	s_andn2_b64 vcc, exec, s[2:3]
	s_cbranch_vccnz .LBB32_73
; %bb.72:
	v_add_co_u32_e32 v14, vcc, 24, v10
	v_addc_co_u32_e32 v15, vcc, 0, v11, vcc
	v_add_co_u32_e32 v10, vcc, 28, v10
	v_addc_co_u32_e32 v11, vcc, 0, v11, vcc
	s_cbranch_execz .LBB32_74
	s_branch .LBB32_75
.LBB32_73:
                                        ; implicit-def: $vgpr14_vgpr15
                                        ; implicit-def: $vgpr10_vgpr11
.LBB32_74:
	v_mul_lo_u32 v13, v13, s30
	v_mul_lo_u32 v14, v12, s31
	v_mad_u64_u32 v[10:11], s[0:1], v12, s30, 0
	v_add3_u32 v11, v11, v14, v13
	v_lshlrev_b64 v[10:11], 3, v[10:11]
	v_add_co_u32_e32 v10, vcc, v22, v10
	v_addc_co_u32_e32 v11, vcc, v23, v11, vcc
	v_add_co_u32_e32 v14, vcc, 0x200, v10
	v_addc_co_u32_e32 v15, vcc, 0, v11, vcc
	;; [unrolled: 2-line block ×3, first 2 shown]
.LBB32_75:
	global_load_dword v12, v[14:15], off
	global_load_dword v13, v[10:11], off
	s_waitcnt vmcnt(1)
	v_cmp_neq_f32_e32 vcc, 0, v12
	s_waitcnt vmcnt(0)
	v_cmp_neq_f32_e64 s[0:1], 0, v13
	s_or_b64 s[0:1], vcc, s[0:1]
	v_cndmask_b32_e64 v10, 0, 1, s[0:1]
	v_add_co_u32_e32 v2, vcc, v2, v10
	v_addc_co_u32_e32 v3, vcc, 0, v3, vcc
.LBB32_76:
	s_or_b64 exec, exec, s[8:9]
.LBB32_77:
	s_or_b64 exec, exec, s[6:7]
	v_or_b32_e32 v10, 0x80, v18
	v_mov_b32_e32 v11, v19
	v_cmp_gt_i64_e32 vcc, s[24:25], v[10:11]
	s_and_saveexec_b64 s[6:7], vcc
	s_cbranch_execz .LBB32_101
; %bb.78:
	v_mad_u64_u32 v[12:13], s[0:1], v10, s30, 0
	v_mov_b32_e32 v14, v13
	v_mad_u64_u32 v[10:11], s[0:1], v10, s31, v[14:15]
	v_mov_b32_e32 v13, v10
	v_lshlrev_b64 v[10:11], 3, v[12:13]
	v_add_co_u32_e32 v10, vcc, v24, v10
	v_addc_co_u32_e32 v11, vcc, v25, v11, vcc
	v_mov_b32_e32 v12, s29
	v_add_co_u32_e32 v22, vcc, s28, v8
	v_addc_co_u32_e32 v23, vcc, v12, v9, vcc
	v_cmp_gt_i64_e32 vcc, s[26:27], v[16:17]
	s_and_saveexec_b64 s[8:9], vcc
	s_cbranch_execz .LBB32_82
; %bb.79:
	s_andn2_b64 vcc, exec, s[4:5]
	v_pk_mov_b32 v[12:13], v[10:11], v[10:11] op_sel:[0,1]
	s_cbranch_vccnz .LBB32_81
; %bb.80:
	v_mul_lo_u32 v14, v17, s30
	v_mul_lo_u32 v15, v16, s31
	v_mad_u64_u32 v[12:13], s[0:1], v16, s30, 0
	v_add3_u32 v13, v13, v15, v14
	v_lshlrev_b64 v[12:13], 3, v[12:13]
	v_add_co_u32_e32 v12, vcc, v22, v12
	v_addc_co_u32_e32 v13, vcc, v23, v13, vcc
	v_add_co_u32_e32 v12, vcc, 0x400, v12
	v_addc_co_u32_e32 v13, vcc, 0, v13, vcc
.LBB32_81:
	global_load_dwordx2 v[12:13], v[12:13], off
	s_waitcnt vmcnt(0)
	v_cmp_neq_f32_e32 vcc, 0, v12
	v_cmp_neq_f32_e64 s[0:1], 0, v13
	s_or_b64 s[0:1], vcc, s[0:1]
	v_cndmask_b32_e64 v12, 0, 1, s[0:1]
	v_add_co_u32_e32 v4, vcc, v4, v12
	v_addc_co_u32_e32 v5, vcc, 0, v5, vcc
.LBB32_82:
	s_or_b64 exec, exec, s[8:9]
	v_or_b32_e32 v12, 1, v16
	v_mov_b32_e32 v13, v17
	v_cmp_gt_i64_e32 vcc, s[26:27], v[12:13]
	s_and_saveexec_b64 s[8:9], vcc
	s_cbranch_execz .LBB32_88
; %bb.83:
	s_andn2_b64 vcc, exec, s[2:3]
	s_cbranch_vccnz .LBB32_85
; %bb.84:
	v_add_co_u32_e32 v14, vcc, 8, v10
	v_addc_co_u32_e32 v15, vcc, 0, v11, vcc
	v_add_co_u32_e32 v20, vcc, 12, v10
	v_addc_co_u32_e32 v21, vcc, 0, v11, vcc
	s_cbranch_execz .LBB32_86
	s_branch .LBB32_87
.LBB32_85:
                                        ; implicit-def: $vgpr14_vgpr15
                                        ; implicit-def: $vgpr20_vgpr21
.LBB32_86:
	v_mul_lo_u32 v14, v13, s30
	v_mul_lo_u32 v15, v12, s31
	v_mad_u64_u32 v[12:13], s[0:1], v12, s30, 0
	v_add3_u32 v13, v13, v15, v14
	v_lshlrev_b64 v[12:13], 3, v[12:13]
	v_add_co_u32_e32 v12, vcc, v22, v12
	v_addc_co_u32_e32 v13, vcc, v23, v13, vcc
	v_add_co_u32_e32 v14, vcc, 0x400, v12
	v_addc_co_u32_e32 v15, vcc, 0, v13, vcc
	;; [unrolled: 2-line block ×3, first 2 shown]
.LBB32_87:
	global_load_dword v12, v[14:15], off
	global_load_dword v13, v[20:21], off
	s_waitcnt vmcnt(1)
	v_cmp_neq_f32_e32 vcc, 0, v12
	s_waitcnt vmcnt(0)
	v_cmp_neq_f32_e64 s[0:1], 0, v13
	s_or_b64 s[0:1], vcc, s[0:1]
	v_cndmask_b32_e64 v12, 0, 1, s[0:1]
	v_add_co_u32_e32 v4, vcc, v4, v12
	v_addc_co_u32_e32 v5, vcc, 0, v5, vcc
.LBB32_88:
	s_or_b64 exec, exec, s[8:9]
	v_or_b32_e32 v12, 2, v16
	v_mov_b32_e32 v13, v17
	v_cmp_gt_i64_e32 vcc, s[26:27], v[12:13]
	s_and_saveexec_b64 s[8:9], vcc
	s_cbranch_execz .LBB32_94
; %bb.89:
	s_andn2_b64 vcc, exec, s[2:3]
	s_cbranch_vccnz .LBB32_91
; %bb.90:
	v_add_co_u32_e32 v14, vcc, 16, v10
	v_addc_co_u32_e32 v15, vcc, 0, v11, vcc
	v_add_co_u32_e32 v20, vcc, 20, v10
	v_addc_co_u32_e32 v21, vcc, 0, v11, vcc
	s_cbranch_execz .LBB32_92
	s_branch .LBB32_93
.LBB32_91:
                                        ; implicit-def: $vgpr14_vgpr15
                                        ; implicit-def: $vgpr20_vgpr21
.LBB32_92:
	v_mul_lo_u32 v14, v13, s30
	v_mul_lo_u32 v15, v12, s31
	v_mad_u64_u32 v[12:13], s[0:1], v12, s30, 0
	v_add3_u32 v13, v13, v15, v14
	v_lshlrev_b64 v[12:13], 3, v[12:13]
	v_add_co_u32_e32 v12, vcc, v22, v12
	v_addc_co_u32_e32 v13, vcc, v23, v13, vcc
	v_add_co_u32_e32 v14, vcc, 0x400, v12
	v_addc_co_u32_e32 v15, vcc, 0, v13, vcc
	v_add_co_u32_e32 v20, vcc, 0x404, v12
	v_addc_co_u32_e32 v21, vcc, 0, v13, vcc
.LBB32_93:
	global_load_dword v12, v[14:15], off
	global_load_dword v13, v[20:21], off
	s_waitcnt vmcnt(1)
	v_cmp_neq_f32_e32 vcc, 0, v12
	s_waitcnt vmcnt(0)
	v_cmp_neq_f32_e64 s[0:1], 0, v13
	s_or_b64 s[0:1], vcc, s[0:1]
	v_cndmask_b32_e64 v12, 0, 1, s[0:1]
	v_add_co_u32_e32 v4, vcc, v4, v12
	v_addc_co_u32_e32 v5, vcc, 0, v5, vcc
.LBB32_94:
	s_or_b64 exec, exec, s[8:9]
	v_or_b32_e32 v12, 3, v16
	v_mov_b32_e32 v13, v17
	v_cmp_gt_i64_e32 vcc, s[26:27], v[12:13]
	s_and_saveexec_b64 s[8:9], vcc
	s_cbranch_execz .LBB32_100
; %bb.95:
	s_andn2_b64 vcc, exec, s[2:3]
	s_cbranch_vccnz .LBB32_97
; %bb.96:
	v_add_co_u32_e32 v14, vcc, 24, v10
	v_addc_co_u32_e32 v15, vcc, 0, v11, vcc
	v_add_co_u32_e32 v10, vcc, 28, v10
	v_addc_co_u32_e32 v11, vcc, 0, v11, vcc
	s_cbranch_execz .LBB32_98
	s_branch .LBB32_99
.LBB32_97:
                                        ; implicit-def: $vgpr14_vgpr15
                                        ; implicit-def: $vgpr10_vgpr11
.LBB32_98:
	v_mul_lo_u32 v13, v13, s30
	v_mul_lo_u32 v14, v12, s31
	v_mad_u64_u32 v[10:11], s[0:1], v12, s30, 0
	v_add3_u32 v11, v11, v14, v13
	v_lshlrev_b64 v[10:11], 3, v[10:11]
	v_add_co_u32_e32 v10, vcc, v22, v10
	v_addc_co_u32_e32 v11, vcc, v23, v11, vcc
	v_add_co_u32_e32 v14, vcc, 0x400, v10
	v_addc_co_u32_e32 v15, vcc, 0, v11, vcc
	;; [unrolled: 2-line block ×3, first 2 shown]
.LBB32_99:
	global_load_dword v12, v[14:15], off
	global_load_dword v13, v[10:11], off
	s_waitcnt vmcnt(1)
	v_cmp_neq_f32_e32 vcc, 0, v12
	s_waitcnt vmcnt(0)
	v_cmp_neq_f32_e64 s[0:1], 0, v13
	s_or_b64 s[0:1], vcc, s[0:1]
	v_cndmask_b32_e64 v10, 0, 1, s[0:1]
	v_add_co_u32_e32 v4, vcc, v4, v10
	v_addc_co_u32_e32 v5, vcc, 0, v5, vcc
.LBB32_100:
	s_or_b64 exec, exec, s[8:9]
.LBB32_101:
	s_or_b64 exec, exec, s[6:7]
	v_or_b32_e32 v18, 0xc0, v18
	v_cmp_gt_i64_e32 vcc, s[24:25], v[18:19]
	s_and_saveexec_b64 s[6:7], vcc
	s_cbranch_execz .LBB32_125
; %bb.102:
	v_mad_u64_u32 v[10:11], s[0:1], v18, s30, 0
	v_mov_b32_e32 v12, v11
	v_mad_u64_u32 v[12:13], s[0:1], v18, s31, v[12:13]
	v_mov_b32_e32 v11, v12
	v_lshlrev_b64 v[10:11], 3, v[10:11]
	v_add_co_u32_e32 v10, vcc, v24, v10
	v_addc_co_u32_e32 v11, vcc, v25, v11, vcc
	v_mov_b32_e32 v12, s29
	v_add_co_u32_e32 v18, vcc, s28, v8
	v_addc_co_u32_e32 v19, vcc, v12, v9, vcc
	v_cmp_gt_i64_e32 vcc, s[26:27], v[16:17]
	s_and_saveexec_b64 s[8:9], vcc
	s_cbranch_execz .LBB32_106
; %bb.103:
	s_andn2_b64 vcc, exec, s[4:5]
	v_pk_mov_b32 v[8:9], v[10:11], v[10:11] op_sel:[0,1]
	s_cbranch_vccnz .LBB32_105
; %bb.104:
	v_mul_lo_u32 v12, v17, s30
	v_mul_lo_u32 v13, v16, s31
	v_mad_u64_u32 v[8:9], s[0:1], v16, s30, 0
	v_add3_u32 v9, v9, v13, v12
	v_lshlrev_b64 v[8:9], 3, v[8:9]
	v_add_co_u32_e32 v8, vcc, v18, v8
	v_addc_co_u32_e32 v9, vcc, v19, v9, vcc
	v_add_co_u32_e32 v8, vcc, 0x600, v8
	v_addc_co_u32_e32 v9, vcc, 0, v9, vcc
.LBB32_105:
	global_load_dwordx2 v[8:9], v[8:9], off
	s_waitcnt vmcnt(0)
	v_cmp_neq_f32_e32 vcc, 0, v8
	v_cmp_neq_f32_e64 s[0:1], 0, v9
	s_or_b64 s[0:1], vcc, s[0:1]
	v_cndmask_b32_e64 v8, 0, 1, s[0:1]
	v_add_co_u32_e32 v6, vcc, v6, v8
	v_addc_co_u32_e32 v7, vcc, 0, v7, vcc
.LBB32_106:
	s_or_b64 exec, exec, s[8:9]
	v_or_b32_e32 v8, 1, v16
	v_mov_b32_e32 v9, v17
	v_cndmask_b32_e64 v12, 0, 1, s[2:3]
	v_cmp_gt_i64_e32 vcc, s[26:27], v[8:9]
	v_cmp_ne_u32_e64 s[0:1], 1, v12
	s_and_saveexec_b64 s[4:5], vcc
	s_cbranch_execz .LBB32_112
; %bb.107:
	s_and_b64 vcc, exec, s[0:1]
	s_cbranch_vccnz .LBB32_109
; %bb.108:
	v_add_co_u32_e32 v12, vcc, 8, v10
	v_addc_co_u32_e32 v13, vcc, 0, v11, vcc
	v_add_co_u32_e32 v14, vcc, 12, v10
	v_addc_co_u32_e32 v15, vcc, 0, v11, vcc
	s_cbranch_execz .LBB32_110
	s_branch .LBB32_111
.LBB32_109:
                                        ; implicit-def: $vgpr12_vgpr13
                                        ; implicit-def: $vgpr14_vgpr15
.LBB32_110:
	v_mul_lo_u32 v12, v9, s30
	v_mul_lo_u32 v13, v8, s31
	v_mad_u64_u32 v[8:9], s[2:3], v8, s30, 0
	v_add3_u32 v9, v9, v13, v12
	v_lshlrev_b64 v[8:9], 3, v[8:9]
	v_add_co_u32_e32 v8, vcc, v18, v8
	v_addc_co_u32_e32 v9, vcc, v19, v9, vcc
	v_add_co_u32_e32 v12, vcc, 0x600, v8
	v_addc_co_u32_e32 v13, vcc, 0, v9, vcc
	;; [unrolled: 2-line block ×3, first 2 shown]
.LBB32_111:
	global_load_dword v8, v[12:13], off
	global_load_dword v9, v[14:15], off
	s_waitcnt vmcnt(1)
	v_cmp_neq_f32_e32 vcc, 0, v8
	s_waitcnt vmcnt(0)
	v_cmp_neq_f32_e64 s[2:3], 0, v9
	s_or_b64 s[2:3], vcc, s[2:3]
	v_cndmask_b32_e64 v8, 0, 1, s[2:3]
	v_add_co_u32_e32 v6, vcc, v6, v8
	v_addc_co_u32_e32 v7, vcc, 0, v7, vcc
.LBB32_112:
	s_or_b64 exec, exec, s[4:5]
	v_or_b32_e32 v8, 2, v16
	v_mov_b32_e32 v9, v17
	v_cmp_gt_i64_e32 vcc, s[26:27], v[8:9]
	s_and_saveexec_b64 s[4:5], vcc
	s_cbranch_execz .LBB32_118
; %bb.113:
	s_and_b64 vcc, exec, s[0:1]
	s_cbranch_vccnz .LBB32_115
; %bb.114:
	v_add_co_u32_e32 v12, vcc, 16, v10
	v_addc_co_u32_e32 v13, vcc, 0, v11, vcc
	v_add_co_u32_e32 v14, vcc, 20, v10
	v_addc_co_u32_e32 v15, vcc, 0, v11, vcc
	s_cbranch_execz .LBB32_116
	s_branch .LBB32_117
.LBB32_115:
                                        ; implicit-def: $vgpr12_vgpr13
                                        ; implicit-def: $vgpr14_vgpr15
.LBB32_116:
	v_mul_lo_u32 v12, v9, s30
	v_mul_lo_u32 v13, v8, s31
	v_mad_u64_u32 v[8:9], s[2:3], v8, s30, 0
	v_add3_u32 v9, v9, v13, v12
	v_lshlrev_b64 v[8:9], 3, v[8:9]
	v_add_co_u32_e32 v8, vcc, v18, v8
	v_addc_co_u32_e32 v9, vcc, v19, v9, vcc
	v_add_co_u32_e32 v12, vcc, 0x600, v8
	v_addc_co_u32_e32 v13, vcc, 0, v9, vcc
	;; [unrolled: 2-line block ×3, first 2 shown]
.LBB32_117:
	global_load_dword v8, v[12:13], off
	global_load_dword v9, v[14:15], off
	s_waitcnt vmcnt(1)
	v_cmp_neq_f32_e32 vcc, 0, v8
	s_waitcnt vmcnt(0)
	v_cmp_neq_f32_e64 s[2:3], 0, v9
	s_or_b64 s[2:3], vcc, s[2:3]
	v_cndmask_b32_e64 v8, 0, 1, s[2:3]
	v_add_co_u32_e32 v6, vcc, v6, v8
	v_addc_co_u32_e32 v7, vcc, 0, v7, vcc
.LBB32_118:
	s_or_b64 exec, exec, s[4:5]
	v_or_b32_e32 v16, 3, v16
	v_cmp_gt_i64_e32 vcc, s[26:27], v[16:17]
	s_and_saveexec_b64 s[2:3], vcc
	s_cbranch_execz .LBB32_124
; %bb.119:
	s_and_b64 vcc, exec, s[0:1]
	s_cbranch_vccnz .LBB32_121
; %bb.120:
	v_add_co_u32_e32 v8, vcc, 24, v10
	v_addc_co_u32_e32 v9, vcc, 0, v11, vcc
	v_add_co_u32_e32 v10, vcc, 28, v10
	v_addc_co_u32_e32 v11, vcc, 0, v11, vcc
	s_cbranch_execz .LBB32_122
	s_branch .LBB32_123
.LBB32_121:
                                        ; implicit-def: $vgpr8_vgpr9
                                        ; implicit-def: $vgpr10_vgpr11
.LBB32_122:
	v_mul_lo_u32 v10, v17, s30
	v_mul_lo_u32 v11, v16, s31
	v_mad_u64_u32 v[8:9], s[0:1], v16, s30, 0
	v_add3_u32 v9, v9, v11, v10
	v_lshlrev_b64 v[8:9], 3, v[8:9]
	v_add_co_u32_e32 v10, vcc, v18, v8
	v_addc_co_u32_e32 v11, vcc, v19, v9, vcc
	v_add_co_u32_e32 v8, vcc, 0x600, v10
	v_addc_co_u32_e32 v9, vcc, 0, v11, vcc
	;; [unrolled: 2-line block ×3, first 2 shown]
.LBB32_123:
	global_load_dword v12, v[8:9], off
	global_load_dword v13, v[10:11], off
	s_waitcnt vmcnt(1)
	v_cmp_neq_f32_e32 vcc, 0, v12
	s_waitcnt vmcnt(0)
	v_cmp_neq_f32_e64 s[0:1], 0, v13
	s_or_b64 s[0:1], vcc, s[0:1]
	v_cndmask_b32_e64 v8, 0, 1, s[0:1]
	v_add_co_u32_e32 v6, vcc, v6, v8
	v_addc_co_u32_e32 v7, vcc, 0, v7, vcc
.LBB32_124:
	s_or_b64 exec, exec, s[2:3]
.LBB32_125:
	s_or_b64 exec, exec, s[6:7]
.LBB32_126:
	v_lshlrev_b32_e32 v8, 2, v37
	s_mov_b32 s0, 0x1fffff00
	v_and_or_b32 v8, v8, s0, v38
	s_movk_i32 s0, 0x100
	v_lshlrev_b32_e32 v8, 3, v8
	v_cmp_gt_u32_e32 vcc, s0, v37
	ds_write2st64_b64 v8, v[0:1], v[2:3] offset1:1
	ds_write2st64_b64 v8, v[4:5], v[6:7] offset0:2 offset1:3
	s_waitcnt lgkmcnt(0)
	s_barrier
	s_and_saveexec_b64 s[0:1], vcc
	s_cbranch_execz .LBB32_129
; %bb.127:
	v_lshlrev_b32_e32 v10, 3, v37
	ds_read2st64_b64 v[2:5], v10 offset1:4
	ds_read2st64_b64 v[6:9], v10 offset0:8 offset1:12
	v_add_co_u32_e32 v0, vcc, s33, v37
	v_addc_co_u32_e64 v1, s[0:1], 0, 0, vcc
	s_waitcnt lgkmcnt(1)
	v_add_co_u32_e32 v2, vcc, v2, v4
	v_addc_co_u32_e32 v3, vcc, v3, v5, vcc
	s_waitcnt lgkmcnt(0)
	v_add_co_u32_e32 v6, vcc, v2, v6
	v_addc_co_u32_e32 v7, vcc, v3, v7, vcc
	ds_read2st64_b64 v[2:5], v10 offset0:16 offset1:20
	v_add_co_u32_e32 v6, vcc, v6, v8
	v_addc_co_u32_e32 v7, vcc, v7, v9, vcc
	s_waitcnt lgkmcnt(0)
	v_add_co_u32_e32 v2, vcc, v6, v2
	v_addc_co_u32_e32 v3, vcc, v7, v3, vcc
	ds_read2st64_b64 v[6:9], v10 offset0:24 offset1:28
	v_add_co_u32_e32 v2, vcc, v2, v4
	v_addc_co_u32_e32 v3, vcc, v3, v5, vcc
	s_waitcnt lgkmcnt(0)
	v_add_co_u32_e32 v6, vcc, v2, v6
	v_addc_co_u32_e32 v7, vcc, v3, v7, vcc
	ds_read2st64_b64 v[2:5], v10 offset0:32 offset1:36
	v_add_co_u32_e32 v6, vcc, v6, v8
	v_addc_co_u32_e32 v7, vcc, v7, v9, vcc
	s_waitcnt lgkmcnt(0)
	v_add_co_u32_e32 v2, vcc, v6, v2
	v_addc_co_u32_e32 v3, vcc, v7, v3, vcc
	ds_read2st64_b64 v[6:9], v10 offset0:40 offset1:44
	v_add_co_u32_e32 v2, vcc, v2, v4
	v_addc_co_u32_e32 v3, vcc, v3, v5, vcc
	s_waitcnt lgkmcnt(0)
	v_add_co_u32_e32 v6, vcc, v2, v6
	v_addc_co_u32_e32 v7, vcc, v3, v7, vcc
	ds_read2st64_b64 v[2:5], v10 offset0:48 offset1:52
	v_add_co_u32_e32 v6, vcc, v6, v8
	v_addc_co_u32_e32 v7, vcc, v7, v9, vcc
	s_waitcnt lgkmcnt(0)
	v_add_co_u32_e32 v2, vcc, v6, v2
	v_addc_co_u32_e32 v3, vcc, v7, v3, vcc
	ds_read2st64_b64 v[6:9], v10 offset0:56 offset1:60
	v_add_co_u32_e32 v2, vcc, v2, v4
	v_addc_co_u32_e32 v3, vcc, v3, v5, vcc
	s_waitcnt lgkmcnt(0)
	v_add_co_u32_e32 v2, vcc, v2, v6
	v_addc_co_u32_e32 v3, vcc, v3, v7, vcc
	v_add_co_u32_e32 v2, vcc, v2, v8
	v_addc_co_u32_e32 v3, vcc, v3, v9, vcc
	v_cmp_gt_i64_e32 vcc, s[24:25], v[0:1]
	ds_write_b64 v10, v[2:3]
	s_and_b64 exec, exec, vcc
	s_cbranch_execz .LBB32_129
; %bb.128:
	v_lshlrev_b64 v[0:1], 3, v[0:1]
	v_mov_b32_e32 v4, s35
	v_add_co_u32_e32 v0, vcc, s34, v0
	v_addc_co_u32_e32 v1, vcc, v4, v1, vcc
	global_store_dwordx2 v[0:1], v[2:3], off
.LBB32_129:
	s_endpgm
	.section	.rodata,"a",@progbits
	.p2align	6, 0x0
	.amdhsa_kernel _ZN9rocsparseL14nnz_kernel_rowILi64ELi16Ell21rocsparse_complex_numIfEEEv16rocsparse_order_T2_S4_PKT3_lPT1_
		.amdhsa_group_segment_fixed_size 32768
		.amdhsa_private_segment_fixed_size 0
		.amdhsa_kernarg_size 304
		.amdhsa_user_sgpr_count 6
		.amdhsa_user_sgpr_private_segment_buffer 1
		.amdhsa_user_sgpr_dispatch_ptr 0
		.amdhsa_user_sgpr_queue_ptr 0
		.amdhsa_user_sgpr_kernarg_segment_ptr 1
		.amdhsa_user_sgpr_dispatch_id 0
		.amdhsa_user_sgpr_flat_scratch_init 0
		.amdhsa_user_sgpr_kernarg_preload_length 0
		.amdhsa_user_sgpr_kernarg_preload_offset 0
		.amdhsa_user_sgpr_private_segment_size 0
		.amdhsa_uses_dynamic_stack 0
		.amdhsa_system_sgpr_private_segment_wavefront_offset 0
		.amdhsa_system_sgpr_workgroup_id_x 1
		.amdhsa_system_sgpr_workgroup_id_y 0
		.amdhsa_system_sgpr_workgroup_id_z 0
		.amdhsa_system_sgpr_workgroup_info 0
		.amdhsa_system_vgpr_workitem_id 1
		.amdhsa_next_free_vgpr 48
		.amdhsa_next_free_sgpr 51
		.amdhsa_accum_offset 48
		.amdhsa_reserve_vcc 1
		.amdhsa_reserve_flat_scratch 0
		.amdhsa_float_round_mode_32 0
		.amdhsa_float_round_mode_16_64 0
		.amdhsa_float_denorm_mode_32 3
		.amdhsa_float_denorm_mode_16_64 3
		.amdhsa_dx10_clamp 1
		.amdhsa_ieee_mode 1
		.amdhsa_fp16_overflow 0
		.amdhsa_tg_split 0
		.amdhsa_exception_fp_ieee_invalid_op 0
		.amdhsa_exception_fp_denorm_src 0
		.amdhsa_exception_fp_ieee_div_zero 0
		.amdhsa_exception_fp_ieee_overflow 0
		.amdhsa_exception_fp_ieee_underflow 0
		.amdhsa_exception_fp_ieee_inexact 0
		.amdhsa_exception_int_div_zero 0
	.end_amdhsa_kernel
	.section	.text._ZN9rocsparseL14nnz_kernel_rowILi64ELi16Ell21rocsparse_complex_numIfEEEv16rocsparse_order_T2_S4_PKT3_lPT1_,"axG",@progbits,_ZN9rocsparseL14nnz_kernel_rowILi64ELi16Ell21rocsparse_complex_numIfEEEv16rocsparse_order_T2_S4_PKT3_lPT1_,comdat
.Lfunc_end32:
	.size	_ZN9rocsparseL14nnz_kernel_rowILi64ELi16Ell21rocsparse_complex_numIfEEEv16rocsparse_order_T2_S4_PKT3_lPT1_, .Lfunc_end32-_ZN9rocsparseL14nnz_kernel_rowILi64ELi16Ell21rocsparse_complex_numIfEEEv16rocsparse_order_T2_S4_PKT3_lPT1_
                                        ; -- End function
	.section	.AMDGPU.csdata,"",@progbits
; Kernel info:
; codeLenInByte = 6328
; NumSgprs: 55
; NumVgprs: 48
; NumAgprs: 0
; TotalNumVgprs: 48
; ScratchSize: 0
; MemoryBound: 0
; FloatMode: 240
; IeeeMode: 1
; LDSByteSize: 32768 bytes/workgroup (compile time only)
; SGPRBlocks: 6
; VGPRBlocks: 5
; NumSGPRsForWavesPerEU: 55
; NumVGPRsForWavesPerEU: 48
; AccumOffset: 48
; Occupancy: 8
; WaveLimiterHint : 0
; COMPUTE_PGM_RSRC2:SCRATCH_EN: 0
; COMPUTE_PGM_RSRC2:USER_SGPR: 6
; COMPUTE_PGM_RSRC2:TRAP_HANDLER: 0
; COMPUTE_PGM_RSRC2:TGID_X_EN: 1
; COMPUTE_PGM_RSRC2:TGID_Y_EN: 0
; COMPUTE_PGM_RSRC2:TGID_Z_EN: 0
; COMPUTE_PGM_RSRC2:TIDIG_COMP_CNT: 1
; COMPUTE_PGM_RSRC3_GFX90A:ACCUM_OFFSET: 11
; COMPUTE_PGM_RSRC3_GFX90A:TG_SPLIT: 0
	.section	.text._ZN9rocsparseL14nnz_kernel_colILi256Ell21rocsparse_complex_numIfEEEv16rocsparse_order_T1_S4_PKT2_lPT0_,"axG",@progbits,_ZN9rocsparseL14nnz_kernel_colILi256Ell21rocsparse_complex_numIfEEEv16rocsparse_order_T1_S4_PKT2_lPT0_,comdat
	.globl	_ZN9rocsparseL14nnz_kernel_colILi256Ell21rocsparse_complex_numIfEEEv16rocsparse_order_T1_S4_PKT2_lPT0_ ; -- Begin function _ZN9rocsparseL14nnz_kernel_colILi256Ell21rocsparse_complex_numIfEEEv16rocsparse_order_T1_S4_PKT2_lPT0_
	.p2align	8
	.type	_ZN9rocsparseL14nnz_kernel_colILi256Ell21rocsparse_complex_numIfEEEv16rocsparse_order_T1_S4_PKT2_lPT0_,@function
_ZN9rocsparseL14nnz_kernel_colILi256Ell21rocsparse_complex_numIfEEEv16rocsparse_order_T1_S4_PKT2_lPT0_: ; @_ZN9rocsparseL14nnz_kernel_colILi256Ell21rocsparse_complex_numIfEEEv16rocsparse_order_T1_S4_PKT2_lPT0_
; %bb.0:
	s_load_dwordx2 s[2:3], s[4:5], 0x8
	s_load_dword s0, s[4:5], 0x0
	s_load_dwordx4 s[8:11], s[4:5], 0x18
	s_mov_b32 s7, 0
	v_mov_b32_e32 v1, 0
	s_waitcnt lgkmcnt(0)
	s_ashr_i32 s1, s3, 31
	s_lshr_b32 s1, s1, 24
	s_add_u32 s1, s2, s1
	s_addc_u32 s13, s3, 0
	s_and_b32 s12, s1, 0xffffff00
	s_cmp_eq_u32 s0, 1
	s_cbranch_scc1 .LBB33_6
; %bb.1:
	v_mov_b32_e32 v2, 0x100
	v_mov_b32_e32 v3, 0
	v_cmp_lt_i64_e32 vcc, s[2:3], v[2:3]
	v_pk_mov_b32 v[2:3], 0, 0
	s_cbranch_vccnz .LBB33_7
; %bb.2:
	v_mad_u64_u32 v[2:3], s[0:1], s10, v0, 0
	v_mov_b32_e32 v4, v3
	v_mad_u64_u32 v[4:5], s[0:1], s11, v0, v[4:5]
	s_lshl_b64 s[0:1], s[6:7], 3
	v_mov_b32_e32 v3, v4
	s_add_u32 s0, s8, s0
	v_lshlrev_b64 v[2:3], 3, v[2:3]
	s_addc_u32 s1, s9, s1
	v_mov_b32_e32 v4, s1
	v_add_co_u32_e32 v2, vcc, s0, v2
	v_addc_co_u32_e32 v3, vcc, v4, v3, vcc
	v_add_co_u32_e32 v4, vcc, 4, v2
	s_lshl_b64 s[14:15], s[10:11], 11
	v_addc_co_u32_e32 v5, vcc, 0, v3, vcc
	s_mov_b64 s[16:17], 0
	v_pk_mov_b32 v[2:3], 0, 0
	v_mov_b32_e32 v8, s15
	v_pk_mov_b32 v[6:7], s[12:13], s[12:13] op_sel:[0,1]
	s_branch .LBB33_4
.LBB33_3:                               ;   in Loop: Header=BB33_4 Depth=1
	s_or_b64 exec, exec, s[18:19]
	s_add_u32 s16, s16, 0x100
	v_add_co_u32_e32 v4, vcc, s14, v4
	s_addc_u32 s17, s17, 0
	v_addc_co_u32_e32 v5, vcc, v5, v8, vcc
	v_cmp_ge_i64_e32 vcc, s[16:17], v[6:7]
	s_cbranch_vccnz .LBB33_7
.LBB33_4:                               ; =>This Inner Loop Header: Depth=1
	v_mov_b32_e32 v9, s17
	v_add_co_u32_e32 v10, vcc, s16, v0
	v_addc_co_u32_e32 v11, vcc, 0, v9, vcc
	v_cmp_gt_i64_e32 vcc, s[2:3], v[10:11]
	s_and_saveexec_b64 s[18:19], vcc
	s_cbranch_execz .LBB33_3
; %bb.5:                                ;   in Loop: Header=BB33_4 Depth=1
	global_load_dwordx2 v[10:11], v[4:5], off offset:-4
	s_waitcnt vmcnt(0)
	v_cmp_neq_f32_e32 vcc, 0, v10
	v_cmp_neq_f32_e64 s[0:1], 0, v11
	s_or_b64 s[0:1], vcc, s[0:1]
	v_cndmask_b32_e64 v9, 0, 1, s[0:1]
	v_add_co_u32_e32 v2, vcc, v2, v9
	v_addc_co_u32_e32 v3, vcc, 0, v3, vcc
	s_branch .LBB33_3
.LBB33_6:
	s_mov_b64 s[14:15], 0
                                        ; implicit-def: $vgpr2_vgpr3
                                        ; implicit-def: $vgpr4_vgpr5
	s_cbranch_execnz .LBB33_10
	s_branch .LBB33_16
.LBB33_7:
	v_mov_b32_e32 v4, s13
	v_add_co_u32_e32 v6, vcc, s12, v0
	v_addc_co_u32_e32 v7, vcc, 0, v4, vcc
	v_cmp_gt_i64_e32 vcc, s[2:3], v[6:7]
	s_mov_b64 s[0:1], 0
	s_mov_b64 s[14:15], 0
                                        ; implicit-def: $vgpr4_vgpr5
	s_and_saveexec_b64 s[16:17], vcc
	s_xor_b64 s[16:17], exec, s[16:17]
	s_cbranch_execz .LBB33_9
; %bb.8:
	v_mad_u64_u32 v[4:5], s[18:19], v6, s10, 0
	v_mul_lo_u32 v7, v7, s10
	v_mul_lo_u32 v8, v6, s11
	s_lshl_b64 s[18:19], s[6:7], 3
	v_add3_u32 v5, v5, v8, v7
	s_add_u32 s18, s18, s8
	v_lshlrev_b64 v[4:5], 3, v[4:5]
	s_addc_u32 s19, s19, s9
	v_mov_b32_e32 v6, s19
	v_add_co_u32_e32 v4, vcc, s18, v4
	s_mov_b64 s[14:15], exec
	v_addc_co_u32_e32 v5, vcc, v6, v5, vcc
.LBB33_9:
	s_or_b64 exec, exec, s[16:17]
	s_and_b64 vcc, exec, s[0:1]
	s_cbranch_vccz .LBB33_16
.LBB33_10:
	v_mov_b32_e32 v2, 0x100
	v_cmp_gt_i64_e32 vcc, s[2:3], v[0:1]
	v_mov_b32_e32 v3, 0
	s_mul_i32 s0, s6, s11
	s_mul_hi_u32 s1, s6, s10
	v_cndmask_b32_e32 v1, 0, v0, vcc
	v_cmp_lt_i64_e32 vcc, s[2:3], v[2:3]
	s_add_i32 s11, s1, s0
	s_mul_i32 s10, s6, s10
	v_pk_mov_b32 v[2:3], 0, 0
	v_lshlrev_b32_e32 v1, 3, v1
	s_cbranch_vccnz .LBB33_13
; %bb.11:
	s_lshl_b64 s[0:1], s[10:11], 3
	s_add_u32 s0, s8, s0
	s_addc_u32 s1, s9, s1
	v_mov_b32_e32 v2, s1
	v_add_co_u32_e32 v3, vcc, s0, v1
	v_addc_co_u32_e32 v2, vcc, 0, v2, vcc
	v_add_co_u32_e32 v4, vcc, 4, v3
	v_addc_co_u32_e32 v5, vcc, 0, v2, vcc
	s_mov_b64 s[16:17], 0
	v_pk_mov_b32 v[2:3], 0, 0
	v_pk_mov_b32 v[6:7], s[12:13], s[12:13] op_sel:[0,1]
.LBB33_12:                              ; =>This Inner Loop Header: Depth=1
	global_load_dwordx2 v[8:9], v[4:5], off offset:-4
	v_add_co_u32_e32 v4, vcc, 0x800, v4
	v_addc_co_u32_e32 v5, vcc, 0, v5, vcc
	s_waitcnt vmcnt(0)
	v_cmp_neq_f32_e32 vcc, 0, v8
	v_cmp_neq_f32_e64 s[0:1], 0, v9
	s_or_b64 s[0:1], vcc, s[0:1]
	v_cndmask_b32_e64 v8, 0, 1, s[0:1]
	v_add_co_u32_e32 v2, vcc, v2, v8
	s_add_u32 s16, s16, 0x100
	v_addc_co_u32_e32 v3, vcc, 0, v3, vcc
	s_addc_u32 s17, s17, 0
	v_cmp_ge_i64_e32 vcc, s[16:17], v[6:7]
	s_cbranch_vccz .LBB33_12
.LBB33_13:
	v_mov_b32_e32 v5, s13
	v_add_co_u32_e32 v4, vcc, s12, v0
	v_addc_co_u32_e32 v5, vcc, 0, v5, vcc
	v_cmp_gt_i64_e32 vcc, s[2:3], v[4:5]
                                        ; implicit-def: $vgpr4_vgpr5
	s_and_saveexec_b64 s[0:1], vcc
; %bb.14:
	s_lshl_b64 s[10:11], s[10:11], 3
	s_add_u32 s10, s8, s10
	s_addc_u32 s11, s9, s11
	s_lshl_b64 s[8:9], s[12:13], 3
	s_add_u32 s8, s8, s10
	s_addc_u32 s9, s9, s11
	v_mov_b32_e32 v5, s9
	v_add_co_u32_e32 v4, vcc, s8, v1
	v_addc_co_u32_e32 v5, vcc, 0, v5, vcc
	s_or_b64 s[14:15], s[14:15], exec
; %bb.15:
	s_or_b64 exec, exec, s[0:1]
.LBB33_16:
	s_and_saveexec_b64 s[8:9], s[14:15]
	s_cbranch_execz .LBB33_18
; %bb.17:
	global_load_dwordx2 v[4:5], v[4:5], off
	s_waitcnt vmcnt(0)
	v_cmp_neq_f32_e32 vcc, 0, v4
	v_cmp_neq_f32_e64 s[0:1], 0, v5
	s_or_b64 s[0:1], vcc, s[0:1]
	v_cndmask_b32_e64 v1, 0, 1, s[0:1]
	v_add_co_u32_e32 v2, vcc, v2, v1
	v_addc_co_u32_e32 v3, vcc, 0, v3, vcc
.LBB33_18:
	s_or_b64 exec, exec, s[8:9]
	v_lshlrev_b32_e32 v1, 3, v0
	ds_write_b64 v1, v[2:3]
	v_mov_b32_e32 v2, 0x100
	v_mov_b32_e32 v3, 0
	v_cmp_lt_i64_e32 vcc, s[2:3], v[2:3]
	s_mov_b64 s[8:9], -1
	v_cmp_eq_u32_e64 s[0:1], 0, v0
	s_waitcnt lgkmcnt(0)
	s_cbranch_vccnz .LBB33_22
; %bb.19:
	s_and_b64 vcc, exec, s[8:9]
	s_cbranch_vccnz .LBB33_31
.LBB33_20:
	v_cmp_eq_u32_e32 vcc, 0, v0
	s_and_saveexec_b64 s[0:1], vcc
	s_cbranch_execnz .LBB33_48
.LBB33_21:
	s_endpgm
.LBB33_22:
	v_cmp_gt_i64_e64 s[8:9], s[2:3], 1
	s_mov_b64 s[10:11], 1
	s_and_b64 s[8:9], s[0:1], s[8:9]
	s_barrier
	s_and_saveexec_b64 s[0:1], s[8:9]
	s_cbranch_execz .LBB33_30
; %bb.23:
	v_mov_b32_e32 v2, 0
	s_add_u32 s11, s2, -1
	ds_read_b64 v[2:3], v2
	s_addc_u32 s9, s3, -1
	s_add_u32 s2, s2, -2
	s_addc_u32 s3, s3, -1
	v_cmp_lt_u64_e64 s[2:3], s[2:3], 7
	s_and_b64 vcc, exec, s[2:3]
	s_cbranch_vccnz .LBB33_26
; %bb.24:
	s_and_b32 s8, s11, -8
	s_mov_b64 s[2:3], 0
	s_mov_b32 s12, 8
.LBB33_25:                              ; =>This Inner Loop Header: Depth=1
	v_mov_b32_e32 v16, s12
	ds_read2_b64 v[4:7], v16 offset1:1
	ds_read2_b64 v[8:11], v16 offset0:2 offset1:3
	ds_read2_b64 v[12:15], v16 offset0:4 offset1:5
	;; [unrolled: 1-line block ×3, first 2 shown]
	s_add_u32 s14, s2, 8
	s_waitcnt lgkmcnt(3)
	v_add_co_u32_e32 v2, vcc, v2, v4
	v_addc_co_u32_e32 v3, vcc, v3, v5, vcc
	v_add_co_u32_e32 v2, vcc, v2, v6
	v_addc_co_u32_e32 v3, vcc, v3, v7, vcc
	s_waitcnt lgkmcnt(2)
	v_add_co_u32_e32 v2, vcc, v2, v8
	v_addc_co_u32_e32 v3, vcc, v3, v9, vcc
	v_add_co_u32_e32 v2, vcc, v2, v10
	v_addc_co_u32_e32 v3, vcc, v3, v11, vcc
	;; [unrolled: 5-line block ×3, first 2 shown]
	s_waitcnt lgkmcnt(0)
	v_add_co_u32_e32 v2, vcc, v2, v16
	v_addc_co_u32_e32 v3, vcc, v3, v17, vcc
	s_addc_u32 s15, s3, 0
	s_add_i32 s12, s12, 64
	s_add_u32 s10, s2, 9
	v_add_co_u32_e32 v2, vcc, v2, v18
	s_cmp_lg_u64 s[8:9], s[14:15]
	s_mov_b64 s[2:3], s[14:15]
	v_addc_co_u32_e32 v3, vcc, v3, v19, vcc
	s_cbranch_scc1 .LBB33_25
.LBB33_26:
	s_and_b32 s2, s11, 7
	s_mov_b32 s3, 0
	s_cmp_eq_u64 s[2:3], 0
	s_cbranch_scc1 .LBB33_29
; %bb.27:
	s_lshl_b32 s8, s10, 3
.LBB33_28:                              ; =>This Inner Loop Header: Depth=1
	v_mov_b32_e32 v4, s8
	ds_read_b64 v[4:5], v4
	s_add_i32 s8, s8, 8
	s_add_u32 s2, s2, -1
	s_addc_u32 s3, s3, -1
	s_cmp_lg_u64 s[2:3], 0
	s_waitcnt lgkmcnt(0)
	v_add_co_u32_e32 v2, vcc, v2, v4
	v_addc_co_u32_e32 v3, vcc, v3, v5, vcc
	s_cbranch_scc1 .LBB33_28
.LBB33_29:
	v_mov_b32_e32 v4, 0
	s_waitcnt lgkmcnt(0)
	ds_write_b64 v4, v[2:3]
.LBB33_30:
	s_or_b64 exec, exec, s[0:1]
	s_waitcnt lgkmcnt(0)
	s_barrier
	s_branch .LBB33_20
.LBB33_31:
	s_movk_i32 s0, 0x80
	v_cmp_gt_u32_e32 vcc, s0, v0
	s_barrier
	s_and_saveexec_b64 s[0:1], vcc
	s_cbranch_execz .LBB33_33
; %bb.32:
	ds_read2st64_b64 v[2:5], v1 offset1:2
	s_waitcnt lgkmcnt(0)
	v_add_co_u32_e32 v2, vcc, v2, v4
	v_addc_co_u32_e32 v3, vcc, v3, v5, vcc
	ds_write_b64 v1, v[2:3]
.LBB33_33:
	s_or_b64 exec, exec, s[0:1]
	v_cmp_gt_u32_e32 vcc, 64, v0
	s_waitcnt lgkmcnt(0)
	s_barrier
	s_and_saveexec_b64 s[0:1], vcc
	s_cbranch_execz .LBB33_35
; %bb.34:
	ds_read2st64_b64 v[2:5], v1 offset1:1
	s_waitcnt lgkmcnt(0)
	v_add_co_u32_e32 v2, vcc, v2, v4
	v_addc_co_u32_e32 v3, vcc, v3, v5, vcc
	ds_write_b64 v1, v[2:3]
.LBB33_35:
	s_or_b64 exec, exec, s[0:1]
	v_cmp_gt_u32_e32 vcc, 32, v0
	s_waitcnt lgkmcnt(0)
	s_barrier
	s_and_saveexec_b64 s[0:1], vcc
	s_cbranch_execz .LBB33_37
; %bb.36:
	ds_read2_b64 v[2:5], v1 offset1:32
	s_waitcnt lgkmcnt(0)
	v_add_co_u32_e32 v2, vcc, v2, v4
	v_addc_co_u32_e32 v3, vcc, v3, v5, vcc
	ds_write_b64 v1, v[2:3]
.LBB33_37:
	s_or_b64 exec, exec, s[0:1]
	v_cmp_gt_u32_e32 vcc, 16, v0
	s_waitcnt lgkmcnt(0)
	s_barrier
	s_and_saveexec_b64 s[0:1], vcc
	s_cbranch_execz .LBB33_39
; %bb.38:
	ds_read2_b64 v[2:5], v1 offset1:16
	s_waitcnt lgkmcnt(0)
	v_add_co_u32_e32 v2, vcc, v2, v4
	v_addc_co_u32_e32 v3, vcc, v3, v5, vcc
	ds_write_b64 v1, v[2:3]
.LBB33_39:
	;; [unrolled: 13-line block ×5, first 2 shown]
	s_or_b64 exec, exec, s[0:1]
	v_cmp_eq_u32_e32 vcc, 0, v0
	s_waitcnt lgkmcnt(0)
	s_barrier
	s_and_saveexec_b64 s[0:1], vcc
	s_cbranch_execz .LBB33_47
; %bb.46:
	v_mov_b32_e32 v1, 0
	ds_read_b128 v[2:5], v1
	s_waitcnt lgkmcnt(0)
	v_add_co_u32_e32 v2, vcc, v2, v4
	v_addc_co_u32_e32 v3, vcc, v3, v5, vcc
	ds_write_b64 v1, v[2:3]
.LBB33_47:
	s_or_b64 exec, exec, s[0:1]
	s_waitcnt lgkmcnt(0)
	s_barrier
	v_cmp_eq_u32_e32 vcc, 0, v0
	s_and_saveexec_b64 s[0:1], vcc
	s_cbranch_execz .LBB33_21
.LBB33_48:
	s_load_dwordx2 s[0:1], s[4:5], 0x28
	v_mov_b32_e32 v2, 0
	ds_read_b64 v[0:1], v2
	s_lshl_b64 s[2:3], s[6:7], 3
	s_waitcnt lgkmcnt(0)
	s_add_u32 s0, s0, s2
	s_addc_u32 s1, s1, s3
	global_store_dwordx2 v2, v[0:1], s[0:1]
	s_endpgm
	.section	.rodata,"a",@progbits
	.p2align	6, 0x0
	.amdhsa_kernel _ZN9rocsparseL14nnz_kernel_colILi256Ell21rocsparse_complex_numIfEEEv16rocsparse_order_T1_S4_PKT2_lPT0_
		.amdhsa_group_segment_fixed_size 2048
		.amdhsa_private_segment_fixed_size 0
		.amdhsa_kernarg_size 48
		.amdhsa_user_sgpr_count 6
		.amdhsa_user_sgpr_private_segment_buffer 1
		.amdhsa_user_sgpr_dispatch_ptr 0
		.amdhsa_user_sgpr_queue_ptr 0
		.amdhsa_user_sgpr_kernarg_segment_ptr 1
		.amdhsa_user_sgpr_dispatch_id 0
		.amdhsa_user_sgpr_flat_scratch_init 0
		.amdhsa_user_sgpr_kernarg_preload_length 0
		.amdhsa_user_sgpr_kernarg_preload_offset 0
		.amdhsa_user_sgpr_private_segment_size 0
		.amdhsa_uses_dynamic_stack 0
		.amdhsa_system_sgpr_private_segment_wavefront_offset 0
		.amdhsa_system_sgpr_workgroup_id_x 1
		.amdhsa_system_sgpr_workgroup_id_y 0
		.amdhsa_system_sgpr_workgroup_id_z 0
		.amdhsa_system_sgpr_workgroup_info 0
		.amdhsa_system_vgpr_workitem_id 0
		.amdhsa_next_free_vgpr 20
		.amdhsa_next_free_sgpr 20
		.amdhsa_accum_offset 20
		.amdhsa_reserve_vcc 1
		.amdhsa_reserve_flat_scratch 0
		.amdhsa_float_round_mode_32 0
		.amdhsa_float_round_mode_16_64 0
		.amdhsa_float_denorm_mode_32 3
		.amdhsa_float_denorm_mode_16_64 3
		.amdhsa_dx10_clamp 1
		.amdhsa_ieee_mode 1
		.amdhsa_fp16_overflow 0
		.amdhsa_tg_split 0
		.amdhsa_exception_fp_ieee_invalid_op 0
		.amdhsa_exception_fp_denorm_src 0
		.amdhsa_exception_fp_ieee_div_zero 0
		.amdhsa_exception_fp_ieee_overflow 0
		.amdhsa_exception_fp_ieee_underflow 0
		.amdhsa_exception_fp_ieee_inexact 0
		.amdhsa_exception_int_div_zero 0
	.end_amdhsa_kernel
	.section	.text._ZN9rocsparseL14nnz_kernel_colILi256Ell21rocsparse_complex_numIfEEEv16rocsparse_order_T1_S4_PKT2_lPT0_,"axG",@progbits,_ZN9rocsparseL14nnz_kernel_colILi256Ell21rocsparse_complex_numIfEEEv16rocsparse_order_T1_S4_PKT2_lPT0_,comdat
.Lfunc_end33:
	.size	_ZN9rocsparseL14nnz_kernel_colILi256Ell21rocsparse_complex_numIfEEEv16rocsparse_order_T1_S4_PKT2_lPT0_, .Lfunc_end33-_ZN9rocsparseL14nnz_kernel_colILi256Ell21rocsparse_complex_numIfEEEv16rocsparse_order_T1_S4_PKT2_lPT0_
                                        ; -- End function
	.section	.AMDGPU.csdata,"",@progbits
; Kernel info:
; codeLenInByte = 1612
; NumSgprs: 24
; NumVgprs: 20
; NumAgprs: 0
; TotalNumVgprs: 20
; ScratchSize: 0
; MemoryBound: 0
; FloatMode: 240
; IeeeMode: 1
; LDSByteSize: 2048 bytes/workgroup (compile time only)
; SGPRBlocks: 2
; VGPRBlocks: 2
; NumSGPRsForWavesPerEU: 24
; NumVGPRsForWavesPerEU: 20
; AccumOffset: 20
; Occupancy: 8
; WaveLimiterHint : 0
; COMPUTE_PGM_RSRC2:SCRATCH_EN: 0
; COMPUTE_PGM_RSRC2:USER_SGPR: 6
; COMPUTE_PGM_RSRC2:TRAP_HANDLER: 0
; COMPUTE_PGM_RSRC2:TGID_X_EN: 1
; COMPUTE_PGM_RSRC2:TGID_Y_EN: 0
; COMPUTE_PGM_RSRC2:TGID_Z_EN: 0
; COMPUTE_PGM_RSRC2:TIDIG_COMP_CNT: 0
; COMPUTE_PGM_RSRC3_GFX90A:ACCUM_OFFSET: 4
; COMPUTE_PGM_RSRC3_GFX90A:TG_SPLIT: 0
	.section	.text._ZN9rocsparseL14nnz_kernel_rowILi64ELi16Ell21rocsparse_complex_numIdEEEv16rocsparse_order_T2_S4_PKT3_lPT1_,"axG",@progbits,_ZN9rocsparseL14nnz_kernel_rowILi64ELi16Ell21rocsparse_complex_numIdEEEv16rocsparse_order_T2_S4_PKT3_lPT1_,comdat
	.globl	_ZN9rocsparseL14nnz_kernel_rowILi64ELi16Ell21rocsparse_complex_numIdEEEv16rocsparse_order_T2_S4_PKT3_lPT1_ ; -- Begin function _ZN9rocsparseL14nnz_kernel_rowILi64ELi16Ell21rocsparse_complex_numIdEEEv16rocsparse_order_T2_S4_PKT3_lPT1_
	.p2align	8
	.type	_ZN9rocsparseL14nnz_kernel_rowILi64ELi16Ell21rocsparse_complex_numIdEEEv16rocsparse_order_T2_S4_PKT3_lPT1_,@function
_ZN9rocsparseL14nnz_kernel_rowILi64ELi16Ell21rocsparse_complex_numIdEEEv16rocsparse_order_T2_S4_PKT3_lPT1_: ; @_ZN9rocsparseL14nnz_kernel_rowILi64ELi16Ell21rocsparse_complex_numIdEEEv16rocsparse_order_T2_S4_PKT3_lPT1_
; %bb.0:
	s_load_dword s0, s[4:5], 0x3c
	s_load_dwordx2 s[34:35], s[4:5], 0x28
	s_load_dword s50, s[4:5], 0x0
	s_load_dwordx8 s[24:31], s[4:5], 0x8
	v_and_b32_e32 v1, 0x3ff, v0
	s_waitcnt lgkmcnt(0)
	s_and_b32 s0, s0, 0xffff
	v_bfe_u32 v0, v0, 10, 10
	v_mad_u32_u24 v37, v0, s0, v1
	s_ashr_i32 s0, s27, 31
	s_lshl_b32 s33, s6, 8
	s_lshr_b32 s0, s0, 26
	s_mov_b32 s8, 0
	s_add_u32 s0, s26, s0
	v_mov_b32_e32 v19, 0
	v_and_b32_e32 v38, 63, v37
	s_addc_u32 s39, s27, 0
	s_and_b32 s38, s0, 0xffffffc0
	v_lshrrev_b32_e32 v0, 4, v37
	s_mov_b32 s9, s8
	v_or_b32_e32 v18, s33, v38
	s_sub_u32 s36, s26, s38
	v_and_b32_e32 v16, 0x7ffffc, v0
	v_mov_b32_e32 v17, v19
	s_mov_b32 s10, s8
	s_mov_b32 s11, s8
	;; [unrolled: 1-line block ×6, first 2 shown]
	v_pk_mov_b32 v[0:1], s[8:9], s[8:9] op_sel:[0,1]
	s_subb_u32 s37, s27, s39
	v_cmp_gt_i64_e32 vcc, s[38:39], v[16:17]
	v_pk_mov_b32 v[2:3], s[10:11], s[10:11] op_sel:[0,1]
	v_pk_mov_b32 v[4:5], s[12:13], s[12:13] op_sel:[0,1]
	;; [unrolled: 1-line block ×3, first 2 shown]
	v_or_b32_e32 v20, 64, v18
	s_and_saveexec_b64 s[40:41], vcc
	s_cbranch_execz .LBB34_28
; %bb.1:
	v_or_b32_e32 v0, 0x80, v18
	v_mov_b32_e32 v1, v19
	v_cmp_gt_i64_e64 s[4:5], s[24:25], v[0:1]
	v_or_b32_e32 v0, 0xc0, v18
	v_cmp_gt_i64_e64 s[6:7], s[24:25], v[0:1]
	v_add_co_u32_e32 v0, vcc, s33, v38
	v_addc_co_u32_e64 v1, s[16:17], 0, 0, vcc
	v_mul_lo_u32 v4, s31, v0
	v_mul_lo_u32 v5, s30, v1
	v_mad_u64_u32 v[2:3], s[16:17], s30, v0, 0
	v_add3_u32 v3, v3, v5, v4
	v_lshlrev_b64 v[2:3], 4, v[2:3]
	v_and_b32_e32 v4, 0x7ffffc0, v37
	v_mov_b32_e32 v21, v19
	v_add_co_u32_e32 v22, vcc, v2, v4
	v_cmp_gt_i64_e64 s[2:3], s[24:25], v[20:21]
	v_addc_co_u32_e32 v21, vcc, 0, v3, vcc
	v_add_co_u32_e32 v2, vcc, 64, v0
	v_addc_co_u32_e32 v3, vcc, 0, v1, vcc
	v_mul_lo_u32 v6, s31, v2
	v_mul_lo_u32 v7, s30, v3
	v_mad_u64_u32 v[2:3], s[16:17], s30, v2, 0
	v_add3_u32 v3, v3, v7, v6
	v_lshlrev_b64 v[2:3], 4, v[2:3]
	v_add_co_u32_e32 v24, vcc, v2, v4
	s_movk_i32 s18, 0x80
	v_addc_co_u32_e32 v23, vcc, 0, v3, vcc
	v_add_co_u32_e32 v2, vcc, s18, v0
	v_addc_co_u32_e32 v3, vcc, 0, v1, vcc
	v_mul_lo_u32 v6, s31, v2
	v_mul_lo_u32 v7, s30, v3
	v_mad_u64_u32 v[2:3], s[16:17], s30, v2, 0
	v_add3_u32 v3, v3, v7, v6
	v_lshlrev_b64 v[2:3], 4, v[2:3]
	v_add_co_u32_e32 v26, vcc, v2, v4
	s_movk_i32 s19, 0xc0
	v_addc_co_u32_e32 v25, vcc, 0, v3, vcc
	v_add_co_u32_e32 v2, vcc, s19, v0
	v_addc_co_u32_e32 v3, vcc, 0, v1, vcc
	v_mul_lo_u32 v6, s31, v2
	v_mul_lo_u32 v7, s30, v3
	v_mad_u64_u32 v[2:3], s[16:17], s30, v2, 0
	v_add3_u32 v3, v3, v7, v6
	v_lshlrev_b64 v[2:3], 4, v[2:3]
	v_add_co_u32_e32 v28, vcc, v2, v4
	v_addc_co_u32_e32 v27, vcc, 0, v3, vcc
	v_or_b32_e32 v3, 48, v4
	v_lshlrev_b64 v[0:1], 4, v[0:1]
	v_mad_u64_u32 v[30:31], s[16:17], s30, v3, v[0:1]
	v_mov_b32_e32 v2, v31
	v_mad_u64_u32 v[2:3], s[16:17], s31, v3, v[2:3]
	v_or_b32_e32 v3, 32, v4
	v_mad_u64_u32 v[32:33], s[16:17], s30, v3, v[0:1]
	v_mov_b32_e32 v29, v2
	v_mov_b32_e32 v2, v33
	v_mad_u64_u32 v[2:3], s[16:17], s31, v3, v[2:3]
	v_or_b32_e32 v3, 16, v4
	v_mad_u64_u32 v[34:35], s[16:17], s30, v3, v[0:1]
	v_mov_b32_e32 v31, v2
	v_mov_b32_e32 v2, v35
	v_lshrrev_b32_e32 v5, 6, v37
	v_mad_u64_u32 v[2:3], s[16:17], s31, v3, v[2:3]
	v_mov_b32_e32 v33, v2
	v_mad_u64_u32 v[2:3], s[16:17], s30, v5, 0
	v_mov_b32_e32 v4, v3
	v_mad_u64_u32 v[4:5], s[16:17], s31, v5, v[4:5]
	v_mov_b32_e32 v3, v4
	v_lshlrev_b64 v[2:3], 6, v[2:3]
	v_add_co_u32_e32 v36, vcc, v2, v0
	s_cmp_lg_u32 s50, 1
	v_addc_co_u32_e32 v35, vcc, v3, v1, vcc
	v_pk_mov_b32 v[0:1], s[8:9], s[8:9] op_sel:[0,1]
	s_cselect_b64 s[42:43], -1, 0
	v_cmp_gt_i64_e64 s[0:1], s[24:25], v[18:19]
	s_lshl_b64 s[44:45], s[30:31], 10
	s_mov_b64 s[46:47], 0
	v_pk_mov_b32 v[2:3], s[10:11], s[10:11] op_sel:[0,1]
	v_pk_mov_b32 v[4:5], s[12:13], s[12:13] op_sel:[0,1]
	;; [unrolled: 1-line block ×3, first 2 shown]
	s_branch .LBB34_4
.LBB34_2:                               ;   in Loop: Header=BB34_4 Depth=1
	v_pk_mov_b32 v[0:1], v[8:9], v[8:9] op_sel:[0,1]
	v_pk_mov_b32 v[2:3], v[10:11], v[10:11] op_sel:[0,1]
	;; [unrolled: 1-line block ×4, first 2 shown]
.LBB34_3:                               ;   in Loop: Header=BB34_4 Depth=1
	s_or_b64 exec, exec, s[22:23]
	v_add_co_u32_e32 v16, vcc, 64, v16
	v_addc_co_u32_e32 v17, vcc, 0, v17, vcc
	v_add_co_u32_e32 v22, vcc, 0x400, v22
	v_addc_co_u32_e32 v21, vcc, 0, v21, vcc
	;; [unrolled: 2-line block ×5, first 2 shown]
	v_mov_b32_e32 v8, s45
	v_add_co_u32_e32 v30, vcc, s44, v30
	v_addc_co_u32_e32 v29, vcc, v29, v8, vcc
	v_add_co_u32_e32 v32, vcc, s44, v32
	v_addc_co_u32_e32 v31, vcc, v31, v8, vcc
	;; [unrolled: 2-line block ×3, first 2 shown]
	v_cmp_le_i64_e32 vcc, s[38:39], v[16:17]
	s_or_b64 s[46:47], vcc, s[46:47]
	v_add_co_u32_e32 v36, vcc, s44, v36
	v_addc_co_u32_e32 v35, vcc, v35, v8, vcc
	s_andn2_b64 exec, exec, s[46:47]
	s_cbranch_execz .LBB34_27
.LBB34_4:                               ; =>This Inner Loop Header: Depth=1
	v_cndmask_b32_e64 v8, 0, 1, s[42:43]
	v_cmp_ne_u32_e64 s[8:9], 1, v8
	s_and_saveexec_b64 s[48:49], s[0:1]
	s_cbranch_execnz .LBB34_8
; %bb.5:                                ;   in Loop: Header=BB34_4 Depth=1
	s_or_b64 exec, exec, s[48:49]
	s_and_saveexec_b64 s[48:49], s[2:3]
	s_cbranch_execnz .LBB34_13
.LBB34_6:                               ;   in Loop: Header=BB34_4 Depth=1
	s_or_b64 exec, exec, s[48:49]
	s_and_saveexec_b64 s[48:49], s[4:5]
	s_cbranch_execnz .LBB34_18
.LBB34_7:                               ;   in Loop: Header=BB34_4 Depth=1
	s_or_b64 exec, exec, s[48:49]
	s_and_saveexec_b64 s[22:23], s[6:7]
	s_cbranch_execz .LBB34_3
	s_branch .LBB34_23
.LBB34_8:                               ;   in Loop: Header=BB34_4 Depth=1
	s_and_b64 vcc, exec, s[8:9]
	s_cbranch_vccnz .LBB34_10
; %bb.9:                                ;   in Loop: Header=BB34_4 Depth=1
	v_mov_b32_e32 v9, s29
	v_add_co_u32_e32 v8, vcc, s28, v22
	v_addc_co_u32_e32 v9, vcc, v9, v21, vcc
	global_load_dwordx4 v[40:43], v[8:9], off
	global_load_dwordx4 v[44:47], v[8:9], off offset:16
	global_load_dwordx4 v[48:51], v[8:9], off offset:32
	;; [unrolled: 1-line block ×3, first 2 shown]
	v_add_co_u32_e32 v8, vcc, 1, v0
	v_addc_co_u32_e32 v9, vcc, 0, v1, vcc
	v_mov_b32_e32 v10, v2
	v_mov_b32_e32 v11, v3
	;; [unrolled: 1-line block ×6, first 2 shown]
	s_waitcnt vmcnt(3)
	v_cmp_neq_f64_e32 vcc, 0, v[40:41]
	v_cmp_neq_f64_e64 s[10:11], 0, v[42:43]
	s_or_b64 vcc, vcc, s[10:11]
	v_cndmask_b32_e32 v8, v0, v8, vcc
	v_cndmask_b32_e32 v9, v1, v9, vcc
	v_add_co_u32_e32 v39, vcc, 1, v8
	s_waitcnt vmcnt(2)
	v_cmp_neq_f64_e64 s[12:13], 0, v[44:45]
	v_cmp_neq_f64_e64 s[14:15], 0, v[46:47]
	v_addc_co_u32_e32 v40, vcc, 0, v9, vcc
	s_or_b64 vcc, s[12:13], s[14:15]
	v_cndmask_b32_e32 v8, v8, v39, vcc
	v_cndmask_b32_e32 v9, v9, v40, vcc
	v_add_co_u32_e32 v39, vcc, 1, v8
	s_waitcnt vmcnt(1)
	v_cmp_neq_f64_e64 s[16:17], 0, v[48:49]
	v_cmp_neq_f64_e64 s[18:19], 0, v[50:51]
	v_addc_co_u32_e32 v40, vcc, 0, v9, vcc
	s_or_b64 vcc, s[16:17], s[18:19]
	;; [unrolled: 8-line block ×3, first 2 shown]
	v_cndmask_b32_e32 v9, v9, v40, vcc
	v_cndmask_b32_e32 v8, v8, v39, vcc
	s_cbranch_execz .LBB34_11
	s_branch .LBB34_12
.LBB34_10:                              ;   in Loop: Header=BB34_4 Depth=1
                                        ; implicit-def: $vgpr8_vgpr9_vgpr10_vgpr11_vgpr12_vgpr13_vgpr14_vgpr15
.LBB34_11:                              ;   in Loop: Header=BB34_4 Depth=1
	v_mov_b32_e32 v39, s29
	v_add_co_u32_e32 v40, vcc, s28, v36
	v_addc_co_u32_e32 v41, vcc, v39, v35, vcc
	v_add_co_u32_e32 v42, vcc, s28, v34
	v_addc_co_u32_e32 v43, vcc, v39, v33, vcc
	global_load_dwordx4 v[8:11], v[40:41], off
	global_load_dwordx4 v[12:15], v[42:43], off
	v_add_co_u32_e32 v40, vcc, s28, v32
	v_addc_co_u32_e32 v41, vcc, v39, v31, vcc
	global_load_dwordx4 v[40:43], v[40:41], off
	v_add_co_u32_e32 v44, vcc, s28, v30
	v_addc_co_u32_e32 v45, vcc, v39, v29, vcc
	;; [unrolled: 3-line block ×3, first 2 shown]
	s_waitcnt vmcnt(3)
	v_cmp_neq_f64_e32 vcc, 0, v[8:9]
	v_cmp_neq_f64_e64 s[10:11], 0, v[10:11]
	s_or_b64 vcc, vcc, s[10:11]
	v_cndmask_b32_e32 v0, v0, v39, vcc
	v_cndmask_b32_e32 v1, v1, v48, vcc
	v_add_co_u32_e32 v8, vcc, 1, v0
	s_waitcnt vmcnt(2)
	v_cmp_neq_f64_e64 s[12:13], 0, v[12:13]
	v_cmp_neq_f64_e64 s[14:15], 0, v[14:15]
	v_addc_co_u32_e32 v9, vcc, 0, v1, vcc
	s_or_b64 vcc, s[12:13], s[14:15]
	v_cndmask_b32_e32 v0, v0, v8, vcc
	v_cndmask_b32_e32 v1, v1, v9, vcc
	v_add_co_u32_e32 v8, vcc, 1, v0
	s_waitcnt vmcnt(1)
	v_cmp_neq_f64_e64 s[16:17], 0, v[40:41]
	v_cmp_neq_f64_e64 s[18:19], 0, v[42:43]
	v_addc_co_u32_e32 v9, vcc, 0, v1, vcc
	s_or_b64 vcc, s[16:17], s[18:19]
	;; [unrolled: 8-line block ×3, first 2 shown]
	v_cndmask_b32_e32 v1, v1, v9, vcc
	v_cndmask_b32_e32 v0, v0, v8, vcc
	v_pk_mov_b32 v[14:15], v[6:7], v[6:7] op_sel:[0,1]
	v_pk_mov_b32 v[12:13], v[4:5], v[4:5] op_sel:[0,1]
	;; [unrolled: 1-line block ×4, first 2 shown]
.LBB34_12:                              ;   in Loop: Header=BB34_4 Depth=1
	v_pk_mov_b32 v[0:1], v[8:9], v[8:9] op_sel:[0,1]
	v_pk_mov_b32 v[2:3], v[10:11], v[10:11] op_sel:[0,1]
	;; [unrolled: 1-line block ×4, first 2 shown]
	s_or_b64 exec, exec, s[48:49]
	s_and_saveexec_b64 s[48:49], s[2:3]
	s_cbranch_execz .LBB34_6
.LBB34_13:                              ;   in Loop: Header=BB34_4 Depth=1
	s_and_b64 vcc, exec, s[8:9]
	s_cbranch_vccnz .LBB34_15
; %bb.14:                               ;   in Loop: Header=BB34_4 Depth=1
	v_mov_b32_e32 v9, s29
	v_add_co_u32_e32 v8, vcc, s28, v24
	v_addc_co_u32_e32 v9, vcc, v9, v23, vcc
	global_load_dwordx4 v[40:43], v[8:9], off
	global_load_dwordx4 v[44:47], v[8:9], off offset:16
	global_load_dwordx4 v[48:51], v[8:9], off offset:32
	global_load_dwordx4 v[52:55], v[8:9], off offset:48
	v_add_co_u32_e32 v10, vcc, 1, v2
	v_addc_co_u32_e32 v11, vcc, 0, v3, vcc
	v_mov_b32_e32 v8, v0
	v_mov_b32_e32 v9, v1
	;; [unrolled: 1-line block ×6, first 2 shown]
	s_waitcnt vmcnt(3)
	v_cmp_neq_f64_e32 vcc, 0, v[40:41]
	v_cmp_neq_f64_e64 s[10:11], 0, v[42:43]
	s_or_b64 vcc, vcc, s[10:11]
	v_cndmask_b32_e32 v10, v2, v10, vcc
	v_cndmask_b32_e32 v11, v3, v11, vcc
	v_add_co_u32_e32 v39, vcc, 1, v10
	s_waitcnt vmcnt(2)
	v_cmp_neq_f64_e64 s[12:13], 0, v[44:45]
	v_cmp_neq_f64_e64 s[14:15], 0, v[46:47]
	v_addc_co_u32_e32 v40, vcc, 0, v11, vcc
	s_or_b64 vcc, s[12:13], s[14:15]
	v_cndmask_b32_e32 v10, v10, v39, vcc
	v_cndmask_b32_e32 v11, v11, v40, vcc
	v_add_co_u32_e32 v39, vcc, 1, v10
	s_waitcnt vmcnt(1)
	v_cmp_neq_f64_e64 s[16:17], 0, v[48:49]
	v_cmp_neq_f64_e64 s[18:19], 0, v[50:51]
	v_addc_co_u32_e32 v40, vcc, 0, v11, vcc
	s_or_b64 vcc, s[16:17], s[18:19]
	;; [unrolled: 8-line block ×3, first 2 shown]
	v_cndmask_b32_e32 v11, v11, v40, vcc
	v_cndmask_b32_e32 v10, v10, v39, vcc
	s_cbranch_execz .LBB34_16
	s_branch .LBB34_17
.LBB34_15:                              ;   in Loop: Header=BB34_4 Depth=1
                                        ; implicit-def: $vgpr8_vgpr9_vgpr10_vgpr11_vgpr12_vgpr13_vgpr14_vgpr15
.LBB34_16:                              ;   in Loop: Header=BB34_4 Depth=1
	v_mov_b32_e32 v39, s29
	v_add_co_u32_e32 v40, vcc, s28, v36
	v_addc_co_u32_e32 v41, vcc, v39, v35, vcc
	v_add_co_u32_e32 v42, vcc, s28, v34
	v_addc_co_u32_e32 v43, vcc, v39, v33, vcc
	global_load_dwordx4 v[8:11], v[40:41], off offset:1024
	global_load_dwordx4 v[12:15], v[42:43], off offset:1024
	v_add_co_u32_e32 v40, vcc, s28, v32
	v_addc_co_u32_e32 v41, vcc, v39, v31, vcc
	global_load_dwordx4 v[40:43], v[40:41], off offset:1024
	v_add_co_u32_e32 v44, vcc, s28, v30
	v_addc_co_u32_e32 v45, vcc, v39, v29, vcc
	;; [unrolled: 3-line block ×3, first 2 shown]
	s_waitcnt vmcnt(3)
	v_cmp_neq_f64_e32 vcc, 0, v[8:9]
	v_cmp_neq_f64_e64 s[10:11], 0, v[10:11]
	s_or_b64 vcc, vcc, s[10:11]
	v_cndmask_b32_e32 v2, v2, v39, vcc
	v_cndmask_b32_e32 v3, v3, v48, vcc
	v_add_co_u32_e32 v8, vcc, 1, v2
	s_waitcnt vmcnt(2)
	v_cmp_neq_f64_e64 s[12:13], 0, v[12:13]
	v_cmp_neq_f64_e64 s[14:15], 0, v[14:15]
	v_addc_co_u32_e32 v9, vcc, 0, v3, vcc
	s_or_b64 vcc, s[12:13], s[14:15]
	v_cndmask_b32_e32 v2, v2, v8, vcc
	v_cndmask_b32_e32 v3, v3, v9, vcc
	v_add_co_u32_e32 v8, vcc, 1, v2
	s_waitcnt vmcnt(1)
	v_cmp_neq_f64_e64 s[16:17], 0, v[40:41]
	v_cmp_neq_f64_e64 s[18:19], 0, v[42:43]
	v_addc_co_u32_e32 v9, vcc, 0, v3, vcc
	s_or_b64 vcc, s[16:17], s[18:19]
	;; [unrolled: 8-line block ×3, first 2 shown]
	v_cndmask_b32_e32 v3, v3, v9, vcc
	v_cndmask_b32_e32 v2, v2, v8, vcc
	v_pk_mov_b32 v[14:15], v[6:7], v[6:7] op_sel:[0,1]
	v_pk_mov_b32 v[12:13], v[4:5], v[4:5] op_sel:[0,1]
	;; [unrolled: 1-line block ×4, first 2 shown]
.LBB34_17:                              ;   in Loop: Header=BB34_4 Depth=1
	v_pk_mov_b32 v[0:1], v[8:9], v[8:9] op_sel:[0,1]
	v_pk_mov_b32 v[2:3], v[10:11], v[10:11] op_sel:[0,1]
	;; [unrolled: 1-line block ×4, first 2 shown]
	s_or_b64 exec, exec, s[48:49]
	s_and_saveexec_b64 s[48:49], s[4:5]
	s_cbranch_execz .LBB34_7
.LBB34_18:                              ;   in Loop: Header=BB34_4 Depth=1
	s_and_b64 vcc, exec, s[8:9]
	s_cbranch_vccnz .LBB34_20
; %bb.19:                               ;   in Loop: Header=BB34_4 Depth=1
	v_mov_b32_e32 v9, s29
	v_add_co_u32_e32 v8, vcc, s28, v26
	v_addc_co_u32_e32 v9, vcc, v9, v25, vcc
	global_load_dwordx4 v[40:43], v[8:9], off
	global_load_dwordx4 v[44:47], v[8:9], off offset:16
	global_load_dwordx4 v[48:51], v[8:9], off offset:32
	;; [unrolled: 1-line block ×3, first 2 shown]
	v_add_co_u32_e32 v12, vcc, 1, v4
	v_addc_co_u32_e32 v13, vcc, 0, v5, vcc
	v_mov_b32_e32 v8, v0
	v_mov_b32_e32 v9, v1
	;; [unrolled: 1-line block ×6, first 2 shown]
	s_waitcnt vmcnt(3)
	v_cmp_neq_f64_e32 vcc, 0, v[40:41]
	v_cmp_neq_f64_e64 s[10:11], 0, v[42:43]
	s_or_b64 vcc, vcc, s[10:11]
	v_cndmask_b32_e32 v12, v4, v12, vcc
	v_cndmask_b32_e32 v13, v5, v13, vcc
	v_add_co_u32_e32 v39, vcc, 1, v12
	s_waitcnt vmcnt(2)
	v_cmp_neq_f64_e64 s[12:13], 0, v[44:45]
	v_cmp_neq_f64_e64 s[14:15], 0, v[46:47]
	v_addc_co_u32_e32 v40, vcc, 0, v13, vcc
	s_or_b64 vcc, s[12:13], s[14:15]
	v_cndmask_b32_e32 v12, v12, v39, vcc
	v_cndmask_b32_e32 v13, v13, v40, vcc
	v_add_co_u32_e32 v39, vcc, 1, v12
	s_waitcnt vmcnt(1)
	v_cmp_neq_f64_e64 s[16:17], 0, v[48:49]
	v_cmp_neq_f64_e64 s[18:19], 0, v[50:51]
	v_addc_co_u32_e32 v40, vcc, 0, v13, vcc
	s_or_b64 vcc, s[16:17], s[18:19]
	;; [unrolled: 8-line block ×3, first 2 shown]
	v_cndmask_b32_e32 v13, v13, v40, vcc
	v_cndmask_b32_e32 v12, v12, v39, vcc
	s_cbranch_execz .LBB34_21
	s_branch .LBB34_22
.LBB34_20:                              ;   in Loop: Header=BB34_4 Depth=1
                                        ; implicit-def: $vgpr8_vgpr9_vgpr10_vgpr11_vgpr12_vgpr13_vgpr14_vgpr15
.LBB34_21:                              ;   in Loop: Header=BB34_4 Depth=1
	v_mov_b32_e32 v39, s29
	v_add_co_u32_e32 v40, vcc, s28, v36
	v_addc_co_u32_e32 v41, vcc, v39, v35, vcc
	v_add_co_u32_e32 v42, vcc, s28, v34
	v_addc_co_u32_e32 v43, vcc, v39, v33, vcc
	global_load_dwordx4 v[8:11], v[40:41], off offset:2048
	global_load_dwordx4 v[12:15], v[42:43], off offset:2048
	v_add_co_u32_e32 v40, vcc, s28, v32
	v_addc_co_u32_e32 v41, vcc, v39, v31, vcc
	global_load_dwordx4 v[40:43], v[40:41], off offset:2048
	v_add_co_u32_e32 v44, vcc, s28, v30
	v_addc_co_u32_e32 v45, vcc, v39, v29, vcc
	;; [unrolled: 3-line block ×3, first 2 shown]
	s_waitcnt vmcnt(3)
	v_cmp_neq_f64_e32 vcc, 0, v[8:9]
	v_cmp_neq_f64_e64 s[10:11], 0, v[10:11]
	s_or_b64 vcc, vcc, s[10:11]
	v_cndmask_b32_e32 v4, v4, v39, vcc
	v_cndmask_b32_e32 v5, v5, v48, vcc
	v_add_co_u32_e32 v8, vcc, 1, v4
	s_waitcnt vmcnt(2)
	v_cmp_neq_f64_e64 s[12:13], 0, v[12:13]
	v_cmp_neq_f64_e64 s[14:15], 0, v[14:15]
	v_addc_co_u32_e32 v9, vcc, 0, v5, vcc
	s_or_b64 vcc, s[12:13], s[14:15]
	v_cndmask_b32_e32 v4, v4, v8, vcc
	v_cndmask_b32_e32 v5, v5, v9, vcc
	v_add_co_u32_e32 v8, vcc, 1, v4
	s_waitcnt vmcnt(1)
	v_cmp_neq_f64_e64 s[16:17], 0, v[40:41]
	v_cmp_neq_f64_e64 s[18:19], 0, v[42:43]
	v_addc_co_u32_e32 v9, vcc, 0, v5, vcc
	s_or_b64 vcc, s[16:17], s[18:19]
	;; [unrolled: 8-line block ×3, first 2 shown]
	v_cndmask_b32_e32 v5, v5, v9, vcc
	v_cndmask_b32_e32 v4, v4, v8, vcc
	v_pk_mov_b32 v[14:15], v[6:7], v[6:7] op_sel:[0,1]
	v_pk_mov_b32 v[12:13], v[4:5], v[4:5] op_sel:[0,1]
	;; [unrolled: 1-line block ×4, first 2 shown]
.LBB34_22:                              ;   in Loop: Header=BB34_4 Depth=1
	v_pk_mov_b32 v[0:1], v[8:9], v[8:9] op_sel:[0,1]
	v_pk_mov_b32 v[2:3], v[10:11], v[10:11] op_sel:[0,1]
	v_pk_mov_b32 v[4:5], v[12:13], v[12:13] op_sel:[0,1]
	v_pk_mov_b32 v[6:7], v[14:15], v[14:15] op_sel:[0,1]
	s_or_b64 exec, exec, s[48:49]
	s_and_saveexec_b64 s[22:23], s[6:7]
	s_cbranch_execz .LBB34_3
.LBB34_23:                              ;   in Loop: Header=BB34_4 Depth=1
	s_and_b64 vcc, exec, s[8:9]
	s_cbranch_vccnz .LBB34_25
; %bb.24:                               ;   in Loop: Header=BB34_4 Depth=1
	v_mov_b32_e32 v9, s29
	v_add_co_u32_e32 v8, vcc, s28, v28
	v_addc_co_u32_e32 v9, vcc, v9, v27, vcc
	global_load_dwordx4 v[40:43], v[8:9], off
	global_load_dwordx4 v[44:47], v[8:9], off offset:16
	global_load_dwordx4 v[48:51], v[8:9], off offset:32
	global_load_dwordx4 v[52:55], v[8:9], off offset:48
	v_add_co_u32_e32 v14, vcc, 1, v6
	v_addc_co_u32_e32 v15, vcc, 0, v7, vcc
	v_mov_b32_e32 v8, v0
	v_mov_b32_e32 v9, v1
	;; [unrolled: 1-line block ×6, first 2 shown]
	s_waitcnt vmcnt(3)
	v_cmp_neq_f64_e32 vcc, 0, v[40:41]
	v_cmp_neq_f64_e64 s[8:9], 0, v[42:43]
	s_or_b64 vcc, vcc, s[8:9]
	v_cndmask_b32_e32 v14, v6, v14, vcc
	v_cndmask_b32_e32 v15, v7, v15, vcc
	v_add_co_u32_e32 v39, vcc, 1, v14
	s_waitcnt vmcnt(2)
	v_cmp_neq_f64_e64 s[10:11], 0, v[44:45]
	v_cmp_neq_f64_e64 s[12:13], 0, v[46:47]
	v_addc_co_u32_e32 v40, vcc, 0, v15, vcc
	s_or_b64 vcc, s[10:11], s[12:13]
	v_cndmask_b32_e32 v14, v14, v39, vcc
	v_cndmask_b32_e32 v15, v15, v40, vcc
	v_add_co_u32_e32 v39, vcc, 1, v14
	s_waitcnt vmcnt(1)
	v_cmp_neq_f64_e64 s[14:15], 0, v[48:49]
	v_cmp_neq_f64_e64 s[16:17], 0, v[50:51]
	v_addc_co_u32_e32 v40, vcc, 0, v15, vcc
	s_or_b64 vcc, s[14:15], s[16:17]
	v_cndmask_b32_e32 v14, v14, v39, vcc
	v_cndmask_b32_e32 v15, v15, v40, vcc
	v_add_co_u32_e32 v39, vcc, 1, v14
	s_waitcnt vmcnt(0)
	v_cmp_neq_f64_e64 s[18:19], 0, v[52:53]
	v_cmp_neq_f64_e64 s[20:21], 0, v[54:55]
	v_addc_co_u32_e32 v40, vcc, 0, v15, vcc
	s_or_b64 vcc, s[18:19], s[20:21]
	v_cndmask_b32_e32 v15, v15, v40, vcc
	v_cndmask_b32_e32 v14, v14, v39, vcc
	s_cbranch_execnz .LBB34_2
	s_branch .LBB34_26
.LBB34_25:                              ;   in Loop: Header=BB34_4 Depth=1
                                        ; implicit-def: $vgpr8_vgpr9_vgpr10_vgpr11_vgpr12_vgpr13_vgpr14_vgpr15
.LBB34_26:                              ;   in Loop: Header=BB34_4 Depth=1
	v_mov_b32_e32 v39, s29
	v_add_co_u32_e32 v40, vcc, s28, v36
	v_addc_co_u32_e32 v41, vcc, v39, v35, vcc
	v_add_co_u32_e32 v42, vcc, s28, v34
	v_addc_co_u32_e32 v43, vcc, v39, v33, vcc
	global_load_dwordx4 v[8:11], v[40:41], off offset:3072
	global_load_dwordx4 v[12:15], v[42:43], off offset:3072
	v_add_co_u32_e32 v40, vcc, s28, v32
	v_addc_co_u32_e32 v41, vcc, v39, v31, vcc
	global_load_dwordx4 v[40:43], v[40:41], off offset:3072
	v_add_co_u32_e32 v44, vcc, s28, v30
	v_addc_co_u32_e32 v45, vcc, v39, v29, vcc
	;; [unrolled: 3-line block ×3, first 2 shown]
	s_waitcnt vmcnt(3)
	v_cmp_neq_f64_e32 vcc, 0, v[8:9]
	v_cmp_neq_f64_e64 s[8:9], 0, v[10:11]
	s_or_b64 vcc, vcc, s[8:9]
	v_cndmask_b32_e32 v6, v6, v39, vcc
	v_cndmask_b32_e32 v7, v7, v48, vcc
	v_add_co_u32_e32 v8, vcc, 1, v6
	s_waitcnt vmcnt(2)
	v_cmp_neq_f64_e64 s[10:11], 0, v[12:13]
	v_cmp_neq_f64_e64 s[12:13], 0, v[14:15]
	v_addc_co_u32_e32 v9, vcc, 0, v7, vcc
	s_or_b64 vcc, s[10:11], s[12:13]
	v_cndmask_b32_e32 v6, v6, v8, vcc
	v_cndmask_b32_e32 v7, v7, v9, vcc
	v_add_co_u32_e32 v8, vcc, 1, v6
	s_waitcnt vmcnt(1)
	v_cmp_neq_f64_e64 s[14:15], 0, v[40:41]
	v_cmp_neq_f64_e64 s[16:17], 0, v[42:43]
	v_addc_co_u32_e32 v9, vcc, 0, v7, vcc
	s_or_b64 vcc, s[14:15], s[16:17]
	;; [unrolled: 8-line block ×3, first 2 shown]
	v_cndmask_b32_e32 v7, v7, v9, vcc
	v_cndmask_b32_e32 v6, v6, v8, vcc
	v_pk_mov_b32 v[14:15], v[6:7], v[6:7] op_sel:[0,1]
	v_pk_mov_b32 v[12:13], v[4:5], v[4:5] op_sel:[0,1]
	;; [unrolled: 1-line block ×4, first 2 shown]
	s_branch .LBB34_2
.LBB34_27:
	s_or_b64 exec, exec, s[46:47]
.LBB34_28:
	s_or_b64 exec, exec, s[40:41]
	v_cmp_lt_i64_e64 s[0:1], s[36:37], 1
	s_and_b64 vcc, exec, s[0:1]
	s_cbranch_vccnz .LBB34_126
; %bb.29:
	v_lshlrev_b64 v[8:9], 4, v[16:17]
	v_mov_b32_e32 v10, s29
	v_add_co_u32_e32 v24, vcc, s28, v8
	s_cmp_eq_u32 s50, 1
	v_addc_co_u32_e32 v25, vcc, v10, v9, vcc
	s_cselect_b64 s[4:5], -1, 0
	s_cmp_lg_u32 s50, 1
	s_cselect_b64 s[2:3], -1, 0
	v_cmp_gt_i64_e32 vcc, s[24:25], v[18:19]
	v_lshlrev_b64 v[8:9], 4, v[18:19]
	s_and_saveexec_b64 s[6:7], vcc
	s_cbranch_execz .LBB34_53
; %bb.30:
	v_mad_u64_u32 v[10:11], s[0:1], v18, s30, 0
	v_mov_b32_e32 v12, v11
	v_mad_u64_u32 v[12:13], s[0:1], v18, s31, v[12:13]
	v_mov_b32_e32 v11, v12
	v_lshlrev_b64 v[10:11], 4, v[10:11]
	v_add_co_u32_e32 v10, vcc, v24, v10
	v_addc_co_u32_e32 v11, vcc, v25, v11, vcc
	v_mov_b32_e32 v12, s29
	v_add_co_u32_e32 v21, vcc, s28, v8
	v_addc_co_u32_e32 v26, vcc, v12, v9, vcc
	v_cmp_gt_i64_e32 vcc, s[26:27], v[16:17]
	s_and_saveexec_b64 s[8:9], vcc
	s_cbranch_execz .LBB34_34
; %bb.31:
	s_andn2_b64 vcc, exec, s[4:5]
	v_pk_mov_b32 v[12:13], v[10:11], v[10:11] op_sel:[0,1]
	s_cbranch_vccnz .LBB34_33
; %bb.32:
	v_mul_lo_u32 v14, v17, s30
	v_mul_lo_u32 v15, v16, s31
	v_mad_u64_u32 v[12:13], s[0:1], v16, s30, 0
	v_add3_u32 v13, v13, v15, v14
	v_lshlrev_b64 v[12:13], 4, v[12:13]
	v_add_co_u32_e32 v12, vcc, v21, v12
	v_addc_co_u32_e32 v13, vcc, v26, v13, vcc
.LBB34_33:
	global_load_dwordx4 v[12:15], v[12:13], off
	s_waitcnt vmcnt(0)
	v_cmp_neq_f64_e32 vcc, 0, v[12:13]
	v_cmp_neq_f64_e64 s[0:1], 0, v[14:15]
	s_or_b64 s[0:1], vcc, s[0:1]
	v_cndmask_b32_e64 v12, 0, 1, s[0:1]
	v_add_co_u32_e32 v0, vcc, v0, v12
	v_addc_co_u32_e32 v1, vcc, 0, v1, vcc
.LBB34_34:
	s_or_b64 exec, exec, s[8:9]
	v_or_b32_e32 v12, 1, v16
	v_mov_b32_e32 v13, v17
	v_cmp_gt_i64_e32 vcc, s[26:27], v[12:13]
	s_and_saveexec_b64 s[8:9], vcc
	s_cbranch_execz .LBB34_40
; %bb.35:
	s_andn2_b64 vcc, exec, s[2:3]
	s_cbranch_vccnz .LBB34_37
; %bb.36:
	v_add_co_u32_e32 v14, vcc, 16, v10
	v_addc_co_u32_e32 v15, vcc, 0, v11, vcc
	v_add_co_u32_e32 v22, vcc, 24, v10
	v_addc_co_u32_e32 v23, vcc, 0, v11, vcc
	s_cbranch_execz .LBB34_38
	s_branch .LBB34_39
.LBB34_37:
                                        ; implicit-def: $vgpr14_vgpr15
                                        ; implicit-def: $vgpr22_vgpr23
.LBB34_38:
	v_mul_lo_u32 v14, v13, s30
	v_mul_lo_u32 v15, v12, s31
	v_mad_u64_u32 v[12:13], s[0:1], v12, s30, 0
	v_add3_u32 v13, v13, v15, v14
	v_lshlrev_b64 v[12:13], 4, v[12:13]
	v_add_co_u32_e32 v14, vcc, v21, v12
	v_addc_co_u32_e32 v15, vcc, v26, v13, vcc
	v_add_co_u32_e32 v22, vcc, 8, v14
	v_addc_co_u32_e32 v23, vcc, 0, v15, vcc
.LBB34_39:
	global_load_dwordx2 v[12:13], v[14:15], off
	global_load_dwordx2 v[28:29], v[22:23], off
	s_waitcnt vmcnt(1)
	v_cmp_neq_f64_e32 vcc, 0, v[12:13]
	s_waitcnt vmcnt(0)
	v_cmp_neq_f64_e64 s[0:1], 0, v[28:29]
	s_or_b64 s[0:1], vcc, s[0:1]
	v_cndmask_b32_e64 v12, 0, 1, s[0:1]
	v_add_co_u32_e32 v0, vcc, v0, v12
	v_addc_co_u32_e32 v1, vcc, 0, v1, vcc
.LBB34_40:
	s_or_b64 exec, exec, s[8:9]
	v_or_b32_e32 v12, 2, v16
	v_mov_b32_e32 v13, v17
	v_cmp_gt_i64_e32 vcc, s[26:27], v[12:13]
	s_and_saveexec_b64 s[8:9], vcc
	s_cbranch_execz .LBB34_46
; %bb.41:
	s_andn2_b64 vcc, exec, s[2:3]
	s_cbranch_vccnz .LBB34_43
; %bb.42:
	v_add_co_u32_e32 v14, vcc, 32, v10
	v_addc_co_u32_e32 v15, vcc, 0, v11, vcc
	v_add_co_u32_e32 v22, vcc, 40, v10
	v_addc_co_u32_e32 v23, vcc, 0, v11, vcc
	s_cbranch_execz .LBB34_44
	s_branch .LBB34_45
.LBB34_43:
                                        ; implicit-def: $vgpr14_vgpr15
                                        ; implicit-def: $vgpr22_vgpr23
.LBB34_44:
	v_mul_lo_u32 v14, v13, s30
	v_mul_lo_u32 v15, v12, s31
	v_mad_u64_u32 v[12:13], s[0:1], v12, s30, 0
	v_add3_u32 v13, v13, v15, v14
	v_lshlrev_b64 v[12:13], 4, v[12:13]
	v_add_co_u32_e32 v14, vcc, v21, v12
	v_addc_co_u32_e32 v15, vcc, v26, v13, vcc
	v_add_co_u32_e32 v22, vcc, 8, v14
	v_addc_co_u32_e32 v23, vcc, 0, v15, vcc
.LBB34_45:
	global_load_dwordx2 v[12:13], v[14:15], off
	global_load_dwordx2 v[28:29], v[22:23], off
	s_waitcnt vmcnt(1)
	v_cmp_neq_f64_e32 vcc, 0, v[12:13]
	s_waitcnt vmcnt(0)
	v_cmp_neq_f64_e64 s[0:1], 0, v[28:29]
	s_or_b64 s[0:1], vcc, s[0:1]
	v_cndmask_b32_e64 v12, 0, 1, s[0:1]
	v_add_co_u32_e32 v0, vcc, v0, v12
	v_addc_co_u32_e32 v1, vcc, 0, v1, vcc
.LBB34_46:
	s_or_b64 exec, exec, s[8:9]
	v_or_b32_e32 v12, 3, v16
	v_mov_b32_e32 v13, v17
	v_cmp_gt_i64_e32 vcc, s[26:27], v[12:13]
	s_and_saveexec_b64 s[8:9], vcc
	s_cbranch_execz .LBB34_52
; %bb.47:
	s_andn2_b64 vcc, exec, s[2:3]
	s_cbranch_vccnz .LBB34_49
; %bb.48:
	v_add_co_u32_e32 v14, vcc, 48, v10
	v_addc_co_u32_e32 v15, vcc, 0, v11, vcc
	v_add_co_u32_e32 v10, vcc, 56, v10
	v_addc_co_u32_e32 v11, vcc, 0, v11, vcc
	s_cbranch_execz .LBB34_50
	s_branch .LBB34_51
.LBB34_49:
                                        ; implicit-def: $vgpr14_vgpr15
                                        ; implicit-def: $vgpr10_vgpr11
.LBB34_50:
	v_mul_lo_u32 v13, v13, s30
	v_mul_lo_u32 v14, v12, s31
	v_mad_u64_u32 v[10:11], s[0:1], v12, s30, 0
	v_add3_u32 v11, v11, v14, v13
	v_lshlrev_b64 v[10:11], 4, v[10:11]
	v_add_co_u32_e32 v14, vcc, v21, v10
	v_addc_co_u32_e32 v15, vcc, v26, v11, vcc
	v_add_co_u32_e32 v10, vcc, 8, v14
	v_addc_co_u32_e32 v11, vcc, 0, v15, vcc
.LBB34_51:
	global_load_dwordx2 v[12:13], v[14:15], off
	global_load_dwordx2 v[22:23], v[10:11], off
	s_waitcnt vmcnt(1)
	v_cmp_neq_f64_e32 vcc, 0, v[12:13]
	s_waitcnt vmcnt(0)
	v_cmp_neq_f64_e64 s[0:1], 0, v[22:23]
	s_or_b64 s[0:1], vcc, s[0:1]
	v_cndmask_b32_e64 v10, 0, 1, s[0:1]
	v_add_co_u32_e32 v0, vcc, v0, v10
	v_addc_co_u32_e32 v1, vcc, 0, v1, vcc
.LBB34_52:
	s_or_b64 exec, exec, s[8:9]
.LBB34_53:
	s_or_b64 exec, exec, s[6:7]
	v_mov_b32_e32 v21, v19
	v_cmp_gt_i64_e32 vcc, s[24:25], v[20:21]
	s_and_saveexec_b64 s[6:7], vcc
	s_cbranch_execz .LBB34_77
; %bb.54:
	v_mad_u64_u32 v[10:11], s[0:1], v20, s30, 0
	v_mov_b32_e32 v12, v11
	v_mad_u64_u32 v[12:13], s[0:1], v20, s31, v[12:13]
	v_mov_b32_e32 v11, v12
	v_lshlrev_b64 v[10:11], 4, v[10:11]
	v_add_co_u32_e32 v10, vcc, v24, v10
	v_addc_co_u32_e32 v11, vcc, v25, v11, vcc
	v_mov_b32_e32 v12, s29
	v_add_co_u32_e32 v22, vcc, s28, v8
	v_addc_co_u32_e32 v23, vcc, v12, v9, vcc
	v_cmp_gt_i64_e32 vcc, s[26:27], v[16:17]
	s_and_saveexec_b64 s[8:9], vcc
	s_cbranch_execz .LBB34_58
; %bb.55:
	s_andn2_b64 vcc, exec, s[4:5]
	v_pk_mov_b32 v[12:13], v[10:11], v[10:11] op_sel:[0,1]
	s_cbranch_vccnz .LBB34_57
; %bb.56:
	v_mul_lo_u32 v14, v17, s30
	v_mul_lo_u32 v15, v16, s31
	v_mad_u64_u32 v[12:13], s[0:1], v16, s30, 0
	v_add3_u32 v13, v13, v15, v14
	v_lshlrev_b64 v[12:13], 4, v[12:13]
	v_add_co_u32_e32 v12, vcc, v22, v12
	v_addc_co_u32_e32 v13, vcc, v23, v13, vcc
	v_add_co_u32_e32 v12, vcc, 0x400, v12
	v_addc_co_u32_e32 v13, vcc, 0, v13, vcc
.LBB34_57:
	global_load_dwordx4 v[12:15], v[12:13], off
	s_waitcnt vmcnt(0)
	v_cmp_neq_f64_e32 vcc, 0, v[12:13]
	v_cmp_neq_f64_e64 s[0:1], 0, v[14:15]
	s_or_b64 s[0:1], vcc, s[0:1]
	v_cndmask_b32_e64 v12, 0, 1, s[0:1]
	v_add_co_u32_e32 v2, vcc, v2, v12
	v_addc_co_u32_e32 v3, vcc, 0, v3, vcc
.LBB34_58:
	s_or_b64 exec, exec, s[8:9]
	v_or_b32_e32 v12, 1, v16
	v_mov_b32_e32 v13, v17
	v_cmp_gt_i64_e32 vcc, s[26:27], v[12:13]
	s_and_saveexec_b64 s[8:9], vcc
	s_cbranch_execz .LBB34_64
; %bb.59:
	s_andn2_b64 vcc, exec, s[2:3]
	s_cbranch_vccnz .LBB34_61
; %bb.60:
	v_add_co_u32_e32 v14, vcc, 16, v10
	v_addc_co_u32_e32 v15, vcc, 0, v11, vcc
	v_add_co_u32_e32 v20, vcc, 24, v10
	v_addc_co_u32_e32 v21, vcc, 0, v11, vcc
	s_cbranch_execz .LBB34_62
	s_branch .LBB34_63
.LBB34_61:
                                        ; implicit-def: $vgpr14_vgpr15
                                        ; implicit-def: $vgpr20_vgpr21
.LBB34_62:
	v_mul_lo_u32 v14, v13, s30
	v_mul_lo_u32 v15, v12, s31
	v_mad_u64_u32 v[12:13], s[0:1], v12, s30, 0
	v_add3_u32 v13, v13, v15, v14
	v_lshlrev_b64 v[12:13], 4, v[12:13]
	v_add_co_u32_e32 v12, vcc, v22, v12
	v_addc_co_u32_e32 v13, vcc, v23, v13, vcc
	v_add_co_u32_e32 v14, vcc, 0x400, v12
	v_addc_co_u32_e32 v15, vcc, 0, v13, vcc
	;; [unrolled: 2-line block ×3, first 2 shown]
.LBB34_63:
	global_load_dwordx2 v[12:13], v[14:15], off
	global_load_dwordx2 v[26:27], v[20:21], off
	s_waitcnt vmcnt(1)
	v_cmp_neq_f64_e32 vcc, 0, v[12:13]
	s_waitcnt vmcnt(0)
	v_cmp_neq_f64_e64 s[0:1], 0, v[26:27]
	s_or_b64 s[0:1], vcc, s[0:1]
	v_cndmask_b32_e64 v12, 0, 1, s[0:1]
	v_add_co_u32_e32 v2, vcc, v2, v12
	v_addc_co_u32_e32 v3, vcc, 0, v3, vcc
.LBB34_64:
	s_or_b64 exec, exec, s[8:9]
	v_or_b32_e32 v12, 2, v16
	v_mov_b32_e32 v13, v17
	v_cmp_gt_i64_e32 vcc, s[26:27], v[12:13]
	s_and_saveexec_b64 s[8:9], vcc
	s_cbranch_execz .LBB34_70
; %bb.65:
	s_andn2_b64 vcc, exec, s[2:3]
	s_cbranch_vccnz .LBB34_67
; %bb.66:
	v_add_co_u32_e32 v14, vcc, 32, v10
	v_addc_co_u32_e32 v15, vcc, 0, v11, vcc
	v_add_co_u32_e32 v20, vcc, 40, v10
	v_addc_co_u32_e32 v21, vcc, 0, v11, vcc
	s_cbranch_execz .LBB34_68
	s_branch .LBB34_69
.LBB34_67:
                                        ; implicit-def: $vgpr14_vgpr15
                                        ; implicit-def: $vgpr20_vgpr21
.LBB34_68:
	v_mul_lo_u32 v14, v13, s30
	v_mul_lo_u32 v15, v12, s31
	v_mad_u64_u32 v[12:13], s[0:1], v12, s30, 0
	v_add3_u32 v13, v13, v15, v14
	v_lshlrev_b64 v[12:13], 4, v[12:13]
	v_add_co_u32_e32 v12, vcc, v22, v12
	v_addc_co_u32_e32 v13, vcc, v23, v13, vcc
	v_add_co_u32_e32 v14, vcc, 0x400, v12
	v_addc_co_u32_e32 v15, vcc, 0, v13, vcc
	;; [unrolled: 2-line block ×3, first 2 shown]
.LBB34_69:
	global_load_dwordx2 v[12:13], v[14:15], off
	global_load_dwordx2 v[26:27], v[20:21], off
	s_waitcnt vmcnt(1)
	v_cmp_neq_f64_e32 vcc, 0, v[12:13]
	s_waitcnt vmcnt(0)
	v_cmp_neq_f64_e64 s[0:1], 0, v[26:27]
	s_or_b64 s[0:1], vcc, s[0:1]
	v_cndmask_b32_e64 v12, 0, 1, s[0:1]
	v_add_co_u32_e32 v2, vcc, v2, v12
	v_addc_co_u32_e32 v3, vcc, 0, v3, vcc
.LBB34_70:
	s_or_b64 exec, exec, s[8:9]
	v_or_b32_e32 v12, 3, v16
	v_mov_b32_e32 v13, v17
	v_cmp_gt_i64_e32 vcc, s[26:27], v[12:13]
	s_and_saveexec_b64 s[8:9], vcc
	s_cbranch_execz .LBB34_76
; %bb.71:
	s_andn2_b64 vcc, exec, s[2:3]
	s_cbranch_vccnz .LBB34_73
; %bb.72:
	v_add_co_u32_e32 v14, vcc, 48, v10
	v_addc_co_u32_e32 v15, vcc, 0, v11, vcc
	v_add_co_u32_e32 v10, vcc, 56, v10
	v_addc_co_u32_e32 v11, vcc, 0, v11, vcc
	s_cbranch_execz .LBB34_74
	s_branch .LBB34_75
.LBB34_73:
                                        ; implicit-def: $vgpr14_vgpr15
                                        ; implicit-def: $vgpr10_vgpr11
.LBB34_74:
	v_mul_lo_u32 v13, v13, s30
	v_mul_lo_u32 v14, v12, s31
	v_mad_u64_u32 v[10:11], s[0:1], v12, s30, 0
	v_add3_u32 v11, v11, v14, v13
	v_lshlrev_b64 v[10:11], 4, v[10:11]
	v_add_co_u32_e32 v10, vcc, v22, v10
	v_addc_co_u32_e32 v11, vcc, v23, v11, vcc
	v_add_co_u32_e32 v14, vcc, 0x400, v10
	v_addc_co_u32_e32 v15, vcc, 0, v11, vcc
	;; [unrolled: 2-line block ×3, first 2 shown]
.LBB34_75:
	global_load_dwordx2 v[12:13], v[14:15], off
	global_load_dwordx2 v[20:21], v[10:11], off
	s_waitcnt vmcnt(1)
	v_cmp_neq_f64_e32 vcc, 0, v[12:13]
	s_waitcnt vmcnt(0)
	v_cmp_neq_f64_e64 s[0:1], 0, v[20:21]
	s_or_b64 s[0:1], vcc, s[0:1]
	v_cndmask_b32_e64 v10, 0, 1, s[0:1]
	v_add_co_u32_e32 v2, vcc, v2, v10
	v_addc_co_u32_e32 v3, vcc, 0, v3, vcc
.LBB34_76:
	s_or_b64 exec, exec, s[8:9]
.LBB34_77:
	s_or_b64 exec, exec, s[6:7]
	v_or_b32_e32 v10, 0x80, v18
	v_mov_b32_e32 v11, v19
	v_cmp_gt_i64_e32 vcc, s[24:25], v[10:11]
	s_and_saveexec_b64 s[6:7], vcc
	s_cbranch_execz .LBB34_101
; %bb.78:
	v_mad_u64_u32 v[12:13], s[0:1], v10, s30, 0
	v_mov_b32_e32 v14, v13
	v_mad_u64_u32 v[10:11], s[0:1], v10, s31, v[14:15]
	v_mov_b32_e32 v13, v10
	v_lshlrev_b64 v[10:11], 4, v[12:13]
	v_add_co_u32_e32 v10, vcc, v24, v10
	v_addc_co_u32_e32 v11, vcc, v25, v11, vcc
	v_mov_b32_e32 v12, s29
	v_add_co_u32_e32 v22, vcc, s28, v8
	v_addc_co_u32_e32 v23, vcc, v12, v9, vcc
	v_cmp_gt_i64_e32 vcc, s[26:27], v[16:17]
	s_and_saveexec_b64 s[8:9], vcc
	s_cbranch_execz .LBB34_82
; %bb.79:
	s_andn2_b64 vcc, exec, s[4:5]
	v_pk_mov_b32 v[12:13], v[10:11], v[10:11] op_sel:[0,1]
	s_cbranch_vccnz .LBB34_81
; %bb.80:
	v_mul_lo_u32 v14, v17, s30
	v_mul_lo_u32 v15, v16, s31
	v_mad_u64_u32 v[12:13], s[0:1], v16, s30, 0
	v_add3_u32 v13, v13, v15, v14
	v_lshlrev_b64 v[12:13], 4, v[12:13]
	v_add_co_u32_e32 v12, vcc, v22, v12
	v_addc_co_u32_e32 v13, vcc, v23, v13, vcc
	v_add_co_u32_e32 v12, vcc, 0x800, v12
	v_addc_co_u32_e32 v13, vcc, 0, v13, vcc
.LBB34_81:
	global_load_dwordx4 v[12:15], v[12:13], off
	s_waitcnt vmcnt(0)
	v_cmp_neq_f64_e32 vcc, 0, v[12:13]
	v_cmp_neq_f64_e64 s[0:1], 0, v[14:15]
	s_or_b64 s[0:1], vcc, s[0:1]
	v_cndmask_b32_e64 v12, 0, 1, s[0:1]
	v_add_co_u32_e32 v4, vcc, v4, v12
	v_addc_co_u32_e32 v5, vcc, 0, v5, vcc
.LBB34_82:
	s_or_b64 exec, exec, s[8:9]
	v_or_b32_e32 v12, 1, v16
	v_mov_b32_e32 v13, v17
	v_cmp_gt_i64_e32 vcc, s[26:27], v[12:13]
	s_and_saveexec_b64 s[8:9], vcc
	s_cbranch_execz .LBB34_88
; %bb.83:
	s_andn2_b64 vcc, exec, s[2:3]
	s_cbranch_vccnz .LBB34_85
; %bb.84:
	v_add_co_u32_e32 v14, vcc, 16, v10
	v_addc_co_u32_e32 v15, vcc, 0, v11, vcc
	v_add_co_u32_e32 v20, vcc, 24, v10
	v_addc_co_u32_e32 v21, vcc, 0, v11, vcc
	s_cbranch_execz .LBB34_86
	s_branch .LBB34_87
.LBB34_85:
                                        ; implicit-def: $vgpr14_vgpr15
                                        ; implicit-def: $vgpr20_vgpr21
.LBB34_86:
	v_mul_lo_u32 v14, v13, s30
	v_mul_lo_u32 v15, v12, s31
	v_mad_u64_u32 v[12:13], s[0:1], v12, s30, 0
	v_add3_u32 v13, v13, v15, v14
	v_lshlrev_b64 v[12:13], 4, v[12:13]
	v_add_co_u32_e32 v12, vcc, v22, v12
	v_addc_co_u32_e32 v13, vcc, v23, v13, vcc
	v_add_co_u32_e32 v14, vcc, 0x800, v12
	v_addc_co_u32_e32 v15, vcc, 0, v13, vcc
	;; [unrolled: 2-line block ×3, first 2 shown]
.LBB34_87:
	global_load_dwordx2 v[12:13], v[14:15], off
	global_load_dwordx2 v[26:27], v[20:21], off
	s_waitcnt vmcnt(1)
	v_cmp_neq_f64_e32 vcc, 0, v[12:13]
	s_waitcnt vmcnt(0)
	v_cmp_neq_f64_e64 s[0:1], 0, v[26:27]
	s_or_b64 s[0:1], vcc, s[0:1]
	v_cndmask_b32_e64 v12, 0, 1, s[0:1]
	v_add_co_u32_e32 v4, vcc, v4, v12
	v_addc_co_u32_e32 v5, vcc, 0, v5, vcc
.LBB34_88:
	s_or_b64 exec, exec, s[8:9]
	v_or_b32_e32 v12, 2, v16
	v_mov_b32_e32 v13, v17
	v_cmp_gt_i64_e32 vcc, s[26:27], v[12:13]
	s_and_saveexec_b64 s[8:9], vcc
	s_cbranch_execz .LBB34_94
; %bb.89:
	s_andn2_b64 vcc, exec, s[2:3]
	s_cbranch_vccnz .LBB34_91
; %bb.90:
	v_add_co_u32_e32 v14, vcc, 32, v10
	v_addc_co_u32_e32 v15, vcc, 0, v11, vcc
	v_add_co_u32_e32 v20, vcc, 40, v10
	v_addc_co_u32_e32 v21, vcc, 0, v11, vcc
	s_cbranch_execz .LBB34_92
	s_branch .LBB34_93
.LBB34_91:
                                        ; implicit-def: $vgpr14_vgpr15
                                        ; implicit-def: $vgpr20_vgpr21
.LBB34_92:
	v_mul_lo_u32 v14, v13, s30
	v_mul_lo_u32 v15, v12, s31
	v_mad_u64_u32 v[12:13], s[0:1], v12, s30, 0
	v_add3_u32 v13, v13, v15, v14
	v_lshlrev_b64 v[12:13], 4, v[12:13]
	v_add_co_u32_e32 v12, vcc, v22, v12
	v_addc_co_u32_e32 v13, vcc, v23, v13, vcc
	v_add_co_u32_e32 v14, vcc, 0x800, v12
	v_addc_co_u32_e32 v15, vcc, 0, v13, vcc
	;; [unrolled: 2-line block ×3, first 2 shown]
.LBB34_93:
	global_load_dwordx2 v[12:13], v[14:15], off
	global_load_dwordx2 v[26:27], v[20:21], off
	s_waitcnt vmcnt(1)
	v_cmp_neq_f64_e32 vcc, 0, v[12:13]
	s_waitcnt vmcnt(0)
	v_cmp_neq_f64_e64 s[0:1], 0, v[26:27]
	s_or_b64 s[0:1], vcc, s[0:1]
	v_cndmask_b32_e64 v12, 0, 1, s[0:1]
	v_add_co_u32_e32 v4, vcc, v4, v12
	v_addc_co_u32_e32 v5, vcc, 0, v5, vcc
.LBB34_94:
	s_or_b64 exec, exec, s[8:9]
	v_or_b32_e32 v12, 3, v16
	v_mov_b32_e32 v13, v17
	v_cmp_gt_i64_e32 vcc, s[26:27], v[12:13]
	s_and_saveexec_b64 s[8:9], vcc
	s_cbranch_execz .LBB34_100
; %bb.95:
	s_andn2_b64 vcc, exec, s[2:3]
	s_cbranch_vccnz .LBB34_97
; %bb.96:
	v_add_co_u32_e32 v14, vcc, 48, v10
	v_addc_co_u32_e32 v15, vcc, 0, v11, vcc
	v_add_co_u32_e32 v10, vcc, 56, v10
	v_addc_co_u32_e32 v11, vcc, 0, v11, vcc
	s_cbranch_execz .LBB34_98
	s_branch .LBB34_99
.LBB34_97:
                                        ; implicit-def: $vgpr14_vgpr15
                                        ; implicit-def: $vgpr10_vgpr11
.LBB34_98:
	v_mul_lo_u32 v13, v13, s30
	v_mul_lo_u32 v14, v12, s31
	v_mad_u64_u32 v[10:11], s[0:1], v12, s30, 0
	v_add3_u32 v11, v11, v14, v13
	v_lshlrev_b64 v[10:11], 4, v[10:11]
	v_add_co_u32_e32 v10, vcc, v22, v10
	v_addc_co_u32_e32 v11, vcc, v23, v11, vcc
	v_add_co_u32_e32 v14, vcc, 0x800, v10
	v_addc_co_u32_e32 v15, vcc, 0, v11, vcc
	;; [unrolled: 2-line block ×3, first 2 shown]
.LBB34_99:
	global_load_dwordx2 v[12:13], v[14:15], off
	global_load_dwordx2 v[20:21], v[10:11], off
	s_waitcnt vmcnt(1)
	v_cmp_neq_f64_e32 vcc, 0, v[12:13]
	s_waitcnt vmcnt(0)
	v_cmp_neq_f64_e64 s[0:1], 0, v[20:21]
	s_or_b64 s[0:1], vcc, s[0:1]
	v_cndmask_b32_e64 v10, 0, 1, s[0:1]
	v_add_co_u32_e32 v4, vcc, v4, v10
	v_addc_co_u32_e32 v5, vcc, 0, v5, vcc
.LBB34_100:
	s_or_b64 exec, exec, s[8:9]
.LBB34_101:
	s_or_b64 exec, exec, s[6:7]
	v_or_b32_e32 v18, 0xc0, v18
	v_cmp_gt_i64_e32 vcc, s[24:25], v[18:19]
	s_and_saveexec_b64 s[6:7], vcc
	s_cbranch_execz .LBB34_125
; %bb.102:
	v_mad_u64_u32 v[10:11], s[0:1], v18, s30, 0
	v_mov_b32_e32 v12, v11
	v_mad_u64_u32 v[12:13], s[0:1], v18, s31, v[12:13]
	v_mov_b32_e32 v11, v12
	v_lshlrev_b64 v[10:11], 4, v[10:11]
	v_add_co_u32_e32 v10, vcc, v24, v10
	v_addc_co_u32_e32 v11, vcc, v25, v11, vcc
	v_mov_b32_e32 v12, s29
	v_add_co_u32_e32 v18, vcc, s28, v8
	v_addc_co_u32_e32 v19, vcc, v12, v9, vcc
	v_cmp_gt_i64_e32 vcc, s[26:27], v[16:17]
	s_and_saveexec_b64 s[8:9], vcc
	s_cbranch_execz .LBB34_106
; %bb.103:
	s_andn2_b64 vcc, exec, s[4:5]
	v_pk_mov_b32 v[8:9], v[10:11], v[10:11] op_sel:[0,1]
	s_cbranch_vccnz .LBB34_105
; %bb.104:
	v_mul_lo_u32 v12, v17, s30
	v_mul_lo_u32 v13, v16, s31
	v_mad_u64_u32 v[8:9], s[0:1], v16, s30, 0
	v_add3_u32 v9, v9, v13, v12
	v_lshlrev_b64 v[8:9], 4, v[8:9]
	v_add_co_u32_e32 v8, vcc, v18, v8
	v_addc_co_u32_e32 v9, vcc, v19, v9, vcc
	v_add_co_u32_e32 v8, vcc, 0xc00, v8
	v_addc_co_u32_e32 v9, vcc, 0, v9, vcc
.LBB34_105:
	global_load_dwordx4 v[12:15], v[8:9], off
	s_waitcnt vmcnt(0)
	v_cmp_neq_f64_e32 vcc, 0, v[12:13]
	v_cmp_neq_f64_e64 s[0:1], 0, v[14:15]
	s_or_b64 s[0:1], vcc, s[0:1]
	v_cndmask_b32_e64 v8, 0, 1, s[0:1]
	v_add_co_u32_e32 v6, vcc, v6, v8
	v_addc_co_u32_e32 v7, vcc, 0, v7, vcc
.LBB34_106:
	s_or_b64 exec, exec, s[8:9]
	v_or_b32_e32 v8, 1, v16
	v_mov_b32_e32 v9, v17
	v_cndmask_b32_e64 v12, 0, 1, s[2:3]
	v_cmp_gt_i64_e32 vcc, s[26:27], v[8:9]
	v_cmp_ne_u32_e64 s[0:1], 1, v12
	s_and_saveexec_b64 s[4:5], vcc
	s_cbranch_execz .LBB34_112
; %bb.107:
	s_and_b64 vcc, exec, s[0:1]
	s_cbranch_vccnz .LBB34_109
; %bb.108:
	v_add_co_u32_e32 v12, vcc, 16, v10
	v_addc_co_u32_e32 v13, vcc, 0, v11, vcc
	v_add_co_u32_e32 v14, vcc, 24, v10
	v_addc_co_u32_e32 v15, vcc, 0, v11, vcc
	s_cbranch_execz .LBB34_110
	s_branch .LBB34_111
.LBB34_109:
                                        ; implicit-def: $vgpr12_vgpr13
                                        ; implicit-def: $vgpr14_vgpr15
.LBB34_110:
	v_mul_lo_u32 v12, v9, s30
	v_mul_lo_u32 v13, v8, s31
	v_mad_u64_u32 v[8:9], s[2:3], v8, s30, 0
	v_add3_u32 v9, v9, v13, v12
	v_lshlrev_b64 v[8:9], 4, v[8:9]
	v_add_co_u32_e32 v8, vcc, v18, v8
	v_addc_co_u32_e32 v9, vcc, v19, v9, vcc
	v_add_co_u32_e32 v12, vcc, 0xc00, v8
	v_addc_co_u32_e32 v13, vcc, 0, v9, vcc
	;; [unrolled: 2-line block ×3, first 2 shown]
.LBB34_111:
	global_load_dwordx2 v[8:9], v[12:13], off
	global_load_dwordx2 v[20:21], v[14:15], off
	s_waitcnt vmcnt(1)
	v_cmp_neq_f64_e32 vcc, 0, v[8:9]
	s_waitcnt vmcnt(0)
	v_cmp_neq_f64_e64 s[2:3], 0, v[20:21]
	s_or_b64 s[2:3], vcc, s[2:3]
	v_cndmask_b32_e64 v8, 0, 1, s[2:3]
	v_add_co_u32_e32 v6, vcc, v6, v8
	v_addc_co_u32_e32 v7, vcc, 0, v7, vcc
.LBB34_112:
	s_or_b64 exec, exec, s[4:5]
	v_or_b32_e32 v8, 2, v16
	v_mov_b32_e32 v9, v17
	v_cmp_gt_i64_e32 vcc, s[26:27], v[8:9]
	s_and_saveexec_b64 s[4:5], vcc
	s_cbranch_execz .LBB34_118
; %bb.113:
	s_and_b64 vcc, exec, s[0:1]
	s_cbranch_vccnz .LBB34_115
; %bb.114:
	v_add_co_u32_e32 v12, vcc, 32, v10
	v_addc_co_u32_e32 v13, vcc, 0, v11, vcc
	v_add_co_u32_e32 v14, vcc, 40, v10
	v_addc_co_u32_e32 v15, vcc, 0, v11, vcc
	s_cbranch_execz .LBB34_116
	s_branch .LBB34_117
.LBB34_115:
                                        ; implicit-def: $vgpr12_vgpr13
                                        ; implicit-def: $vgpr14_vgpr15
.LBB34_116:
	v_mul_lo_u32 v12, v9, s30
	v_mul_lo_u32 v13, v8, s31
	v_mad_u64_u32 v[8:9], s[2:3], v8, s30, 0
	v_add3_u32 v9, v9, v13, v12
	v_lshlrev_b64 v[8:9], 4, v[8:9]
	v_add_co_u32_e32 v8, vcc, v18, v8
	v_addc_co_u32_e32 v9, vcc, v19, v9, vcc
	v_add_co_u32_e32 v12, vcc, 0xc00, v8
	v_addc_co_u32_e32 v13, vcc, 0, v9, vcc
	;; [unrolled: 2-line block ×3, first 2 shown]
.LBB34_117:
	global_load_dwordx2 v[8:9], v[12:13], off
	global_load_dwordx2 v[20:21], v[14:15], off
	s_waitcnt vmcnt(1)
	v_cmp_neq_f64_e32 vcc, 0, v[8:9]
	s_waitcnt vmcnt(0)
	v_cmp_neq_f64_e64 s[2:3], 0, v[20:21]
	s_or_b64 s[2:3], vcc, s[2:3]
	v_cndmask_b32_e64 v8, 0, 1, s[2:3]
	v_add_co_u32_e32 v6, vcc, v6, v8
	v_addc_co_u32_e32 v7, vcc, 0, v7, vcc
.LBB34_118:
	s_or_b64 exec, exec, s[4:5]
	v_or_b32_e32 v16, 3, v16
	v_cmp_gt_i64_e32 vcc, s[26:27], v[16:17]
	s_and_saveexec_b64 s[2:3], vcc
	s_cbranch_execz .LBB34_124
; %bb.119:
	s_and_b64 vcc, exec, s[0:1]
	s_cbranch_vccnz .LBB34_121
; %bb.120:
	v_add_co_u32_e32 v8, vcc, 48, v10
	v_addc_co_u32_e32 v9, vcc, 0, v11, vcc
	v_add_co_u32_e32 v10, vcc, 56, v10
	v_addc_co_u32_e32 v11, vcc, 0, v11, vcc
	s_cbranch_execz .LBB34_122
	s_branch .LBB34_123
.LBB34_121:
                                        ; implicit-def: $vgpr8_vgpr9
                                        ; implicit-def: $vgpr10_vgpr11
.LBB34_122:
	v_mul_lo_u32 v10, v17, s30
	v_mul_lo_u32 v11, v16, s31
	v_mad_u64_u32 v[8:9], s[0:1], v16, s30, 0
	v_add3_u32 v9, v9, v11, v10
	v_lshlrev_b64 v[8:9], 4, v[8:9]
	v_add_co_u32_e32 v10, vcc, v18, v8
	v_addc_co_u32_e32 v11, vcc, v19, v9, vcc
	v_add_co_u32_e32 v8, vcc, 0xc00, v10
	v_addc_co_u32_e32 v9, vcc, 0, v11, vcc
	;; [unrolled: 2-line block ×3, first 2 shown]
.LBB34_123:
	global_load_dwordx2 v[12:13], v[8:9], off
	global_load_dwordx2 v[14:15], v[10:11], off
	s_waitcnt vmcnt(1)
	v_cmp_neq_f64_e32 vcc, 0, v[12:13]
	s_waitcnt vmcnt(0)
	v_cmp_neq_f64_e64 s[0:1], 0, v[14:15]
	s_or_b64 s[0:1], vcc, s[0:1]
	v_cndmask_b32_e64 v8, 0, 1, s[0:1]
	v_add_co_u32_e32 v6, vcc, v6, v8
	v_addc_co_u32_e32 v7, vcc, 0, v7, vcc
.LBB34_124:
	s_or_b64 exec, exec, s[2:3]
.LBB34_125:
	s_or_b64 exec, exec, s[6:7]
.LBB34_126:
	v_lshlrev_b32_e32 v8, 2, v37
	s_mov_b32 s0, 0x1fffff00
	v_and_or_b32 v8, v8, s0, v38
	s_movk_i32 s0, 0x100
	v_lshlrev_b32_e32 v8, 3, v8
	v_cmp_gt_u32_e32 vcc, s0, v37
	ds_write2st64_b64 v8, v[0:1], v[2:3] offset1:1
	ds_write2st64_b64 v8, v[4:5], v[6:7] offset0:2 offset1:3
	s_waitcnt lgkmcnt(0)
	s_barrier
	s_and_saveexec_b64 s[0:1], vcc
	s_cbranch_execz .LBB34_129
; %bb.127:
	v_lshlrev_b32_e32 v10, 3, v37
	ds_read2st64_b64 v[2:5], v10 offset1:4
	ds_read2st64_b64 v[6:9], v10 offset0:8 offset1:12
	v_add_co_u32_e32 v0, vcc, s33, v37
	v_addc_co_u32_e64 v1, s[0:1], 0, 0, vcc
	s_waitcnt lgkmcnt(1)
	v_add_co_u32_e32 v2, vcc, v2, v4
	v_addc_co_u32_e32 v3, vcc, v3, v5, vcc
	s_waitcnt lgkmcnt(0)
	v_add_co_u32_e32 v6, vcc, v2, v6
	v_addc_co_u32_e32 v7, vcc, v3, v7, vcc
	ds_read2st64_b64 v[2:5], v10 offset0:16 offset1:20
	v_add_co_u32_e32 v6, vcc, v6, v8
	v_addc_co_u32_e32 v7, vcc, v7, v9, vcc
	s_waitcnt lgkmcnt(0)
	v_add_co_u32_e32 v2, vcc, v6, v2
	v_addc_co_u32_e32 v3, vcc, v7, v3, vcc
	ds_read2st64_b64 v[6:9], v10 offset0:24 offset1:28
	;; [unrolled: 6-line block ×6, first 2 shown]
	v_add_co_u32_e32 v2, vcc, v2, v4
	v_addc_co_u32_e32 v3, vcc, v3, v5, vcc
	s_waitcnt lgkmcnt(0)
	v_add_co_u32_e32 v2, vcc, v2, v6
	v_addc_co_u32_e32 v3, vcc, v3, v7, vcc
	v_add_co_u32_e32 v2, vcc, v2, v8
	v_addc_co_u32_e32 v3, vcc, v3, v9, vcc
	v_cmp_gt_i64_e32 vcc, s[24:25], v[0:1]
	ds_write_b64 v10, v[2:3]
	s_and_b64 exec, exec, vcc
	s_cbranch_execz .LBB34_129
; %bb.128:
	v_lshlrev_b64 v[0:1], 3, v[0:1]
	v_mov_b32_e32 v4, s35
	v_add_co_u32_e32 v0, vcc, s34, v0
	v_addc_co_u32_e32 v1, vcc, v4, v1, vcc
	global_store_dwordx2 v[0:1], v[2:3], off
.LBB34_129:
	s_endpgm
	.section	.rodata,"a",@progbits
	.p2align	6, 0x0
	.amdhsa_kernel _ZN9rocsparseL14nnz_kernel_rowILi64ELi16Ell21rocsparse_complex_numIdEEEv16rocsparse_order_T2_S4_PKT3_lPT1_
		.amdhsa_group_segment_fixed_size 32768
		.amdhsa_private_segment_fixed_size 0
		.amdhsa_kernarg_size 304
		.amdhsa_user_sgpr_count 6
		.amdhsa_user_sgpr_private_segment_buffer 1
		.amdhsa_user_sgpr_dispatch_ptr 0
		.amdhsa_user_sgpr_queue_ptr 0
		.amdhsa_user_sgpr_kernarg_segment_ptr 1
		.amdhsa_user_sgpr_dispatch_id 0
		.amdhsa_user_sgpr_flat_scratch_init 0
		.amdhsa_user_sgpr_kernarg_preload_length 0
		.amdhsa_user_sgpr_kernarg_preload_offset 0
		.amdhsa_user_sgpr_private_segment_size 0
		.amdhsa_uses_dynamic_stack 0
		.amdhsa_system_sgpr_private_segment_wavefront_offset 0
		.amdhsa_system_sgpr_workgroup_id_x 1
		.amdhsa_system_sgpr_workgroup_id_y 0
		.amdhsa_system_sgpr_workgroup_id_z 0
		.amdhsa_system_sgpr_workgroup_info 0
		.amdhsa_system_vgpr_workitem_id 1
		.amdhsa_next_free_vgpr 56
		.amdhsa_next_free_sgpr 51
		.amdhsa_accum_offset 56
		.amdhsa_reserve_vcc 1
		.amdhsa_reserve_flat_scratch 0
		.amdhsa_float_round_mode_32 0
		.amdhsa_float_round_mode_16_64 0
		.amdhsa_float_denorm_mode_32 3
		.amdhsa_float_denorm_mode_16_64 3
		.amdhsa_dx10_clamp 1
		.amdhsa_ieee_mode 1
		.amdhsa_fp16_overflow 0
		.amdhsa_tg_split 0
		.amdhsa_exception_fp_ieee_invalid_op 0
		.amdhsa_exception_fp_denorm_src 0
		.amdhsa_exception_fp_ieee_div_zero 0
		.amdhsa_exception_fp_ieee_overflow 0
		.amdhsa_exception_fp_ieee_underflow 0
		.amdhsa_exception_fp_ieee_inexact 0
		.amdhsa_exception_int_div_zero 0
	.end_amdhsa_kernel
	.section	.text._ZN9rocsparseL14nnz_kernel_rowILi64ELi16Ell21rocsparse_complex_numIdEEEv16rocsparse_order_T2_S4_PKT3_lPT1_,"axG",@progbits,_ZN9rocsparseL14nnz_kernel_rowILi64ELi16Ell21rocsparse_complex_numIdEEEv16rocsparse_order_T2_S4_PKT3_lPT1_,comdat
.Lfunc_end34:
	.size	_ZN9rocsparseL14nnz_kernel_rowILi64ELi16Ell21rocsparse_complex_numIdEEEv16rocsparse_order_T2_S4_PKT3_lPT1_, .Lfunc_end34-_ZN9rocsparseL14nnz_kernel_rowILi64ELi16Ell21rocsparse_complex_numIdEEEv16rocsparse_order_T2_S4_PKT3_lPT1_
                                        ; -- End function
	.section	.AMDGPU.csdata,"",@progbits
; Kernel info:
; codeLenInByte = 6444
; NumSgprs: 55
; NumVgprs: 56
; NumAgprs: 0
; TotalNumVgprs: 56
; ScratchSize: 0
; MemoryBound: 0
; FloatMode: 240
; IeeeMode: 1
; LDSByteSize: 32768 bytes/workgroup (compile time only)
; SGPRBlocks: 6
; VGPRBlocks: 6
; NumSGPRsForWavesPerEU: 55
; NumVGPRsForWavesPerEU: 56
; AccumOffset: 56
; Occupancy: 8
; WaveLimiterHint : 0
; COMPUTE_PGM_RSRC2:SCRATCH_EN: 0
; COMPUTE_PGM_RSRC2:USER_SGPR: 6
; COMPUTE_PGM_RSRC2:TRAP_HANDLER: 0
; COMPUTE_PGM_RSRC2:TGID_X_EN: 1
; COMPUTE_PGM_RSRC2:TGID_Y_EN: 0
; COMPUTE_PGM_RSRC2:TGID_Z_EN: 0
; COMPUTE_PGM_RSRC2:TIDIG_COMP_CNT: 1
; COMPUTE_PGM_RSRC3_GFX90A:ACCUM_OFFSET: 13
; COMPUTE_PGM_RSRC3_GFX90A:TG_SPLIT: 0
	.section	.text._ZN9rocsparseL14nnz_kernel_colILi256Ell21rocsparse_complex_numIdEEEv16rocsparse_order_T1_S4_PKT2_lPT0_,"axG",@progbits,_ZN9rocsparseL14nnz_kernel_colILi256Ell21rocsparse_complex_numIdEEEv16rocsparse_order_T1_S4_PKT2_lPT0_,comdat
	.globl	_ZN9rocsparseL14nnz_kernel_colILi256Ell21rocsparse_complex_numIdEEEv16rocsparse_order_T1_S4_PKT2_lPT0_ ; -- Begin function _ZN9rocsparseL14nnz_kernel_colILi256Ell21rocsparse_complex_numIdEEEv16rocsparse_order_T1_S4_PKT2_lPT0_
	.p2align	8
	.type	_ZN9rocsparseL14nnz_kernel_colILi256Ell21rocsparse_complex_numIdEEEv16rocsparse_order_T1_S4_PKT2_lPT0_,@function
_ZN9rocsparseL14nnz_kernel_colILi256Ell21rocsparse_complex_numIdEEEv16rocsparse_order_T1_S4_PKT2_lPT0_: ; @_ZN9rocsparseL14nnz_kernel_colILi256Ell21rocsparse_complex_numIdEEEv16rocsparse_order_T1_S4_PKT2_lPT0_
; %bb.0:
	s_load_dwordx2 s[2:3], s[4:5], 0x8
	s_load_dword s0, s[4:5], 0x0
	s_load_dwordx4 s[8:11], s[4:5], 0x18
	s_mov_b32 s7, 0
	v_mov_b32_e32 v1, 0
	s_waitcnt lgkmcnt(0)
	s_ashr_i32 s1, s3, 31
	s_lshr_b32 s1, s1, 24
	s_add_u32 s1, s2, s1
	s_addc_u32 s13, s3, 0
	s_and_b32 s12, s1, 0xffffff00
	s_cmp_eq_u32 s0, 1
	s_cbranch_scc1 .LBB35_6
; %bb.1:
	v_mov_b32_e32 v2, 0x100
	v_mov_b32_e32 v3, 0
	v_cmp_lt_i64_e32 vcc, s[2:3], v[2:3]
	v_pk_mov_b32 v[2:3], 0, 0
	s_cbranch_vccnz .LBB35_7
; %bb.2:
	v_mad_u64_u32 v[2:3], s[0:1], s10, v0, 0
	v_mov_b32_e32 v4, v3
	v_mad_u64_u32 v[4:5], s[0:1], s11, v0, v[4:5]
	s_lshl_b64 s[0:1], s[6:7], 4
	v_mov_b32_e32 v3, v4
	s_add_u32 s0, s8, s0
	v_lshlrev_b64 v[2:3], 4, v[2:3]
	s_addc_u32 s1, s9, s1
	v_mov_b32_e32 v4, s1
	v_add_co_u32_e32 v2, vcc, s0, v2
	v_addc_co_u32_e32 v3, vcc, v4, v3, vcc
	v_add_co_u32_e32 v4, vcc, 8, v2
	s_lshl_b64 s[14:15], s[10:11], 12
	v_addc_co_u32_e32 v5, vcc, 0, v3, vcc
	s_mov_b64 s[16:17], 0
	v_pk_mov_b32 v[2:3], 0, 0
	v_mov_b32_e32 v8, s15
	v_pk_mov_b32 v[6:7], s[12:13], s[12:13] op_sel:[0,1]
	s_branch .LBB35_4
.LBB35_3:                               ;   in Loop: Header=BB35_4 Depth=1
	s_or_b64 exec, exec, s[18:19]
	s_add_u32 s16, s16, 0x100
	v_add_co_u32_e32 v4, vcc, s14, v4
	s_addc_u32 s17, s17, 0
	v_addc_co_u32_e32 v5, vcc, v5, v8, vcc
	v_cmp_ge_i64_e32 vcc, s[16:17], v[6:7]
	s_cbranch_vccnz .LBB35_7
.LBB35_4:                               ; =>This Inner Loop Header: Depth=1
	v_mov_b32_e32 v9, s17
	v_add_co_u32_e32 v10, vcc, s16, v0
	v_addc_co_u32_e32 v11, vcc, 0, v9, vcc
	v_cmp_gt_i64_e32 vcc, s[2:3], v[10:11]
	s_and_saveexec_b64 s[18:19], vcc
	s_cbranch_execz .LBB35_3
; %bb.5:                                ;   in Loop: Header=BB35_4 Depth=1
	global_load_dwordx4 v[10:13], v[4:5], off offset:-8
	s_waitcnt vmcnt(0)
	v_cmp_neq_f64_e32 vcc, 0, v[10:11]
	v_cmp_neq_f64_e64 s[0:1], 0, v[12:13]
	s_or_b64 s[0:1], vcc, s[0:1]
	v_cndmask_b32_e64 v9, 0, 1, s[0:1]
	v_add_co_u32_e32 v2, vcc, v2, v9
	v_addc_co_u32_e32 v3, vcc, 0, v3, vcc
	s_branch .LBB35_3
.LBB35_6:
	s_mov_b64 s[14:15], 0
                                        ; implicit-def: $vgpr2_vgpr3
                                        ; implicit-def: $vgpr4_vgpr5
	s_cbranch_execnz .LBB35_10
	s_branch .LBB35_16
.LBB35_7:
	v_mov_b32_e32 v4, s13
	v_add_co_u32_e32 v6, vcc, s12, v0
	v_addc_co_u32_e32 v7, vcc, 0, v4, vcc
	v_cmp_gt_i64_e32 vcc, s[2:3], v[6:7]
	s_mov_b64 s[0:1], 0
	s_mov_b64 s[14:15], 0
                                        ; implicit-def: $vgpr4_vgpr5
	s_and_saveexec_b64 s[16:17], vcc
	s_xor_b64 s[16:17], exec, s[16:17]
	s_cbranch_execz .LBB35_9
; %bb.8:
	v_mad_u64_u32 v[4:5], s[18:19], v6, s10, 0
	v_mul_lo_u32 v7, v7, s10
	v_mul_lo_u32 v8, v6, s11
	s_lshl_b64 s[18:19], s[6:7], 4
	v_add3_u32 v5, v5, v8, v7
	s_add_u32 s18, s18, s8
	v_lshlrev_b64 v[4:5], 4, v[4:5]
	s_addc_u32 s19, s19, s9
	v_mov_b32_e32 v6, s19
	v_add_co_u32_e32 v4, vcc, s18, v4
	s_mov_b64 s[14:15], exec
	v_addc_co_u32_e32 v5, vcc, v6, v5, vcc
.LBB35_9:
	s_or_b64 exec, exec, s[16:17]
	s_and_b64 vcc, exec, s[0:1]
	s_cbranch_vccz .LBB35_16
.LBB35_10:
	v_mov_b32_e32 v2, 0x100
	v_cmp_gt_i64_e32 vcc, s[2:3], v[0:1]
	v_mov_b32_e32 v3, 0
	s_mul_i32 s0, s6, s11
	s_mul_hi_u32 s1, s6, s10
	v_cndmask_b32_e32 v1, 0, v0, vcc
	v_cmp_lt_i64_e32 vcc, s[2:3], v[2:3]
	s_add_i32 s11, s1, s0
	s_mul_i32 s10, s6, s10
	v_pk_mov_b32 v[2:3], 0, 0
	v_lshlrev_b32_e32 v1, 4, v1
	s_cbranch_vccnz .LBB35_13
; %bb.11:
	s_lshl_b64 s[0:1], s[10:11], 4
	s_add_u32 s0, s8, s0
	s_addc_u32 s1, s9, s1
	v_mov_b32_e32 v2, s1
	v_add_co_u32_e32 v3, vcc, s0, v1
	v_addc_co_u32_e32 v2, vcc, 0, v2, vcc
	v_add_co_u32_e32 v4, vcc, 8, v3
	v_addc_co_u32_e32 v5, vcc, 0, v2, vcc
	s_mov_b64 s[16:17], 0
	v_pk_mov_b32 v[2:3], 0, 0
	v_pk_mov_b32 v[6:7], s[12:13], s[12:13] op_sel:[0,1]
.LBB35_12:                              ; =>This Inner Loop Header: Depth=1
	global_load_dwordx4 v[8:11], v[4:5], off offset:-8
	v_add_co_u32_e32 v4, vcc, 0x1000, v4
	v_addc_co_u32_e32 v5, vcc, 0, v5, vcc
	s_waitcnt vmcnt(0)
	v_cmp_neq_f64_e32 vcc, 0, v[8:9]
	v_cmp_neq_f64_e64 s[0:1], 0, v[10:11]
	s_or_b64 s[0:1], vcc, s[0:1]
	v_cndmask_b32_e64 v8, 0, 1, s[0:1]
	v_add_co_u32_e32 v2, vcc, v2, v8
	s_add_u32 s16, s16, 0x100
	v_addc_co_u32_e32 v3, vcc, 0, v3, vcc
	s_addc_u32 s17, s17, 0
	v_cmp_ge_i64_e32 vcc, s[16:17], v[6:7]
	s_cbranch_vccz .LBB35_12
.LBB35_13:
	v_mov_b32_e32 v5, s13
	v_add_co_u32_e32 v4, vcc, s12, v0
	v_addc_co_u32_e32 v5, vcc, 0, v5, vcc
	v_cmp_gt_i64_e32 vcc, s[2:3], v[4:5]
                                        ; implicit-def: $vgpr4_vgpr5
	s_and_saveexec_b64 s[0:1], vcc
; %bb.14:
	s_lshl_b64 s[10:11], s[10:11], 4
	s_add_u32 s10, s8, s10
	s_addc_u32 s11, s9, s11
	s_lshl_b64 s[8:9], s[12:13], 4
	s_add_u32 s8, s8, s10
	s_addc_u32 s9, s9, s11
	v_mov_b32_e32 v5, s9
	v_add_co_u32_e32 v4, vcc, s8, v1
	v_addc_co_u32_e32 v5, vcc, 0, v5, vcc
	s_or_b64 s[14:15], s[14:15], exec
; %bb.15:
	s_or_b64 exec, exec, s[0:1]
.LBB35_16:
	s_and_saveexec_b64 s[8:9], s[14:15]
	s_cbranch_execz .LBB35_18
; %bb.17:
	global_load_dwordx4 v[4:7], v[4:5], off
	s_waitcnt vmcnt(0)
	v_cmp_neq_f64_e32 vcc, 0, v[4:5]
	v_cmp_neq_f64_e64 s[0:1], 0, v[6:7]
	s_or_b64 s[0:1], vcc, s[0:1]
	v_cndmask_b32_e64 v1, 0, 1, s[0:1]
	v_add_co_u32_e32 v2, vcc, v2, v1
	v_addc_co_u32_e32 v3, vcc, 0, v3, vcc
.LBB35_18:
	s_or_b64 exec, exec, s[8:9]
	v_lshlrev_b32_e32 v1, 3, v0
	ds_write_b64 v1, v[2:3]
	v_mov_b32_e32 v2, 0x100
	v_mov_b32_e32 v3, 0
	v_cmp_lt_i64_e32 vcc, s[2:3], v[2:3]
	s_mov_b64 s[8:9], -1
	v_cmp_eq_u32_e64 s[0:1], 0, v0
	s_waitcnt lgkmcnt(0)
	s_cbranch_vccnz .LBB35_22
; %bb.19:
	s_and_b64 vcc, exec, s[8:9]
	s_cbranch_vccnz .LBB35_31
.LBB35_20:
	v_cmp_eq_u32_e32 vcc, 0, v0
	s_and_saveexec_b64 s[0:1], vcc
	s_cbranch_execnz .LBB35_48
.LBB35_21:
	s_endpgm
.LBB35_22:
	v_cmp_gt_i64_e64 s[8:9], s[2:3], 1
	s_mov_b64 s[10:11], 1
	s_and_b64 s[8:9], s[0:1], s[8:9]
	s_barrier
	s_and_saveexec_b64 s[0:1], s[8:9]
	s_cbranch_execz .LBB35_30
; %bb.23:
	v_mov_b32_e32 v2, 0
	s_add_u32 s11, s2, -1
	ds_read_b64 v[2:3], v2
	s_addc_u32 s9, s3, -1
	s_add_u32 s2, s2, -2
	s_addc_u32 s3, s3, -1
	v_cmp_lt_u64_e64 s[2:3], s[2:3], 7
	s_and_b64 vcc, exec, s[2:3]
	s_cbranch_vccnz .LBB35_26
; %bb.24:
	s_and_b32 s8, s11, -8
	s_mov_b64 s[2:3], 0
	s_mov_b32 s12, 8
.LBB35_25:                              ; =>This Inner Loop Header: Depth=1
	v_mov_b32_e32 v16, s12
	ds_read2_b64 v[4:7], v16 offset1:1
	ds_read2_b64 v[8:11], v16 offset0:2 offset1:3
	ds_read2_b64 v[12:15], v16 offset0:4 offset1:5
	;; [unrolled: 1-line block ×3, first 2 shown]
	s_add_u32 s14, s2, 8
	s_waitcnt lgkmcnt(3)
	v_add_co_u32_e32 v2, vcc, v2, v4
	v_addc_co_u32_e32 v3, vcc, v3, v5, vcc
	v_add_co_u32_e32 v2, vcc, v2, v6
	v_addc_co_u32_e32 v3, vcc, v3, v7, vcc
	s_waitcnt lgkmcnt(2)
	v_add_co_u32_e32 v2, vcc, v2, v8
	v_addc_co_u32_e32 v3, vcc, v3, v9, vcc
	v_add_co_u32_e32 v2, vcc, v2, v10
	v_addc_co_u32_e32 v3, vcc, v3, v11, vcc
	;; [unrolled: 5-line block ×3, first 2 shown]
	s_waitcnt lgkmcnt(0)
	v_add_co_u32_e32 v2, vcc, v2, v16
	v_addc_co_u32_e32 v3, vcc, v3, v17, vcc
	s_addc_u32 s15, s3, 0
	s_add_i32 s12, s12, 64
	s_add_u32 s10, s2, 9
	v_add_co_u32_e32 v2, vcc, v2, v18
	s_cmp_lg_u64 s[8:9], s[14:15]
	s_mov_b64 s[2:3], s[14:15]
	v_addc_co_u32_e32 v3, vcc, v3, v19, vcc
	s_cbranch_scc1 .LBB35_25
.LBB35_26:
	s_and_b32 s2, s11, 7
	s_mov_b32 s3, 0
	s_cmp_eq_u64 s[2:3], 0
	s_cbranch_scc1 .LBB35_29
; %bb.27:
	s_lshl_b32 s8, s10, 3
.LBB35_28:                              ; =>This Inner Loop Header: Depth=1
	v_mov_b32_e32 v4, s8
	ds_read_b64 v[4:5], v4
	s_add_i32 s8, s8, 8
	s_add_u32 s2, s2, -1
	s_addc_u32 s3, s3, -1
	s_cmp_lg_u64 s[2:3], 0
	s_waitcnt lgkmcnt(0)
	v_add_co_u32_e32 v2, vcc, v2, v4
	v_addc_co_u32_e32 v3, vcc, v3, v5, vcc
	s_cbranch_scc1 .LBB35_28
.LBB35_29:
	v_mov_b32_e32 v4, 0
	s_waitcnt lgkmcnt(0)
	ds_write_b64 v4, v[2:3]
.LBB35_30:
	s_or_b64 exec, exec, s[0:1]
	s_waitcnt lgkmcnt(0)
	s_barrier
	s_branch .LBB35_20
.LBB35_31:
	s_movk_i32 s0, 0x80
	v_cmp_gt_u32_e32 vcc, s0, v0
	s_barrier
	s_and_saveexec_b64 s[0:1], vcc
	s_cbranch_execz .LBB35_33
; %bb.32:
	ds_read2st64_b64 v[2:5], v1 offset1:2
	s_waitcnt lgkmcnt(0)
	v_add_co_u32_e32 v2, vcc, v2, v4
	v_addc_co_u32_e32 v3, vcc, v3, v5, vcc
	ds_write_b64 v1, v[2:3]
.LBB35_33:
	s_or_b64 exec, exec, s[0:1]
	v_cmp_gt_u32_e32 vcc, 64, v0
	s_waitcnt lgkmcnt(0)
	s_barrier
	s_and_saveexec_b64 s[0:1], vcc
	s_cbranch_execz .LBB35_35
; %bb.34:
	ds_read2st64_b64 v[2:5], v1 offset1:1
	s_waitcnt lgkmcnt(0)
	v_add_co_u32_e32 v2, vcc, v2, v4
	v_addc_co_u32_e32 v3, vcc, v3, v5, vcc
	ds_write_b64 v1, v[2:3]
.LBB35_35:
	s_or_b64 exec, exec, s[0:1]
	v_cmp_gt_u32_e32 vcc, 32, v0
	s_waitcnt lgkmcnt(0)
	s_barrier
	s_and_saveexec_b64 s[0:1], vcc
	s_cbranch_execz .LBB35_37
; %bb.36:
	ds_read2_b64 v[2:5], v1 offset1:32
	s_waitcnt lgkmcnt(0)
	v_add_co_u32_e32 v2, vcc, v2, v4
	v_addc_co_u32_e32 v3, vcc, v3, v5, vcc
	ds_write_b64 v1, v[2:3]
.LBB35_37:
	s_or_b64 exec, exec, s[0:1]
	v_cmp_gt_u32_e32 vcc, 16, v0
	s_waitcnt lgkmcnt(0)
	s_barrier
	s_and_saveexec_b64 s[0:1], vcc
	s_cbranch_execz .LBB35_39
; %bb.38:
	ds_read2_b64 v[2:5], v1 offset1:16
	s_waitcnt lgkmcnt(0)
	v_add_co_u32_e32 v2, vcc, v2, v4
	v_addc_co_u32_e32 v3, vcc, v3, v5, vcc
	ds_write_b64 v1, v[2:3]
.LBB35_39:
	;; [unrolled: 13-line block ×5, first 2 shown]
	s_or_b64 exec, exec, s[0:1]
	v_cmp_eq_u32_e32 vcc, 0, v0
	s_waitcnt lgkmcnt(0)
	s_barrier
	s_and_saveexec_b64 s[0:1], vcc
	s_cbranch_execz .LBB35_47
; %bb.46:
	v_mov_b32_e32 v1, 0
	ds_read_b128 v[2:5], v1
	s_waitcnt lgkmcnt(0)
	v_add_co_u32_e32 v2, vcc, v2, v4
	v_addc_co_u32_e32 v3, vcc, v3, v5, vcc
	ds_write_b64 v1, v[2:3]
.LBB35_47:
	s_or_b64 exec, exec, s[0:1]
	s_waitcnt lgkmcnt(0)
	s_barrier
	v_cmp_eq_u32_e32 vcc, 0, v0
	s_and_saveexec_b64 s[0:1], vcc
	s_cbranch_execz .LBB35_21
.LBB35_48:
	s_load_dwordx2 s[0:1], s[4:5], 0x28
	v_mov_b32_e32 v2, 0
	ds_read_b64 v[0:1], v2
	s_lshl_b64 s[2:3], s[6:7], 3
	s_waitcnt lgkmcnt(0)
	s_add_u32 s0, s0, s2
	s_addc_u32 s1, s1, s3
	global_store_dwordx2 v2, v[0:1], s[0:1]
	s_endpgm
	.section	.rodata,"a",@progbits
	.p2align	6, 0x0
	.amdhsa_kernel _ZN9rocsparseL14nnz_kernel_colILi256Ell21rocsparse_complex_numIdEEEv16rocsparse_order_T1_S4_PKT2_lPT0_
		.amdhsa_group_segment_fixed_size 2048
		.amdhsa_private_segment_fixed_size 0
		.amdhsa_kernarg_size 48
		.amdhsa_user_sgpr_count 6
		.amdhsa_user_sgpr_private_segment_buffer 1
		.amdhsa_user_sgpr_dispatch_ptr 0
		.amdhsa_user_sgpr_queue_ptr 0
		.amdhsa_user_sgpr_kernarg_segment_ptr 1
		.amdhsa_user_sgpr_dispatch_id 0
		.amdhsa_user_sgpr_flat_scratch_init 0
		.amdhsa_user_sgpr_kernarg_preload_length 0
		.amdhsa_user_sgpr_kernarg_preload_offset 0
		.amdhsa_user_sgpr_private_segment_size 0
		.amdhsa_uses_dynamic_stack 0
		.amdhsa_system_sgpr_private_segment_wavefront_offset 0
		.amdhsa_system_sgpr_workgroup_id_x 1
		.amdhsa_system_sgpr_workgroup_id_y 0
		.amdhsa_system_sgpr_workgroup_id_z 0
		.amdhsa_system_sgpr_workgroup_info 0
		.amdhsa_system_vgpr_workitem_id 0
		.amdhsa_next_free_vgpr 20
		.amdhsa_next_free_sgpr 20
		.amdhsa_accum_offset 20
		.amdhsa_reserve_vcc 1
		.amdhsa_reserve_flat_scratch 0
		.amdhsa_float_round_mode_32 0
		.amdhsa_float_round_mode_16_64 0
		.amdhsa_float_denorm_mode_32 3
		.amdhsa_float_denorm_mode_16_64 3
		.amdhsa_dx10_clamp 1
		.amdhsa_ieee_mode 1
		.amdhsa_fp16_overflow 0
		.amdhsa_tg_split 0
		.amdhsa_exception_fp_ieee_invalid_op 0
		.amdhsa_exception_fp_denorm_src 0
		.amdhsa_exception_fp_ieee_div_zero 0
		.amdhsa_exception_fp_ieee_overflow 0
		.amdhsa_exception_fp_ieee_underflow 0
		.amdhsa_exception_fp_ieee_inexact 0
		.amdhsa_exception_int_div_zero 0
	.end_amdhsa_kernel
	.section	.text._ZN9rocsparseL14nnz_kernel_colILi256Ell21rocsparse_complex_numIdEEEv16rocsparse_order_T1_S4_PKT2_lPT0_,"axG",@progbits,_ZN9rocsparseL14nnz_kernel_colILi256Ell21rocsparse_complex_numIdEEEv16rocsparse_order_T1_S4_PKT2_lPT0_,comdat
.Lfunc_end35:
	.size	_ZN9rocsparseL14nnz_kernel_colILi256Ell21rocsparse_complex_numIdEEEv16rocsparse_order_T1_S4_PKT2_lPT0_, .Lfunc_end35-_ZN9rocsparseL14nnz_kernel_colILi256Ell21rocsparse_complex_numIdEEEv16rocsparse_order_T1_S4_PKT2_lPT0_
                                        ; -- End function
	.section	.AMDGPU.csdata,"",@progbits
; Kernel info:
; codeLenInByte = 1612
; NumSgprs: 24
; NumVgprs: 20
; NumAgprs: 0
; TotalNumVgprs: 20
; ScratchSize: 0
; MemoryBound: 0
; FloatMode: 240
; IeeeMode: 1
; LDSByteSize: 2048 bytes/workgroup (compile time only)
; SGPRBlocks: 2
; VGPRBlocks: 2
; NumSGPRsForWavesPerEU: 24
; NumVGPRsForWavesPerEU: 20
; AccumOffset: 20
; Occupancy: 8
; WaveLimiterHint : 0
; COMPUTE_PGM_RSRC2:SCRATCH_EN: 0
; COMPUTE_PGM_RSRC2:USER_SGPR: 6
; COMPUTE_PGM_RSRC2:TRAP_HANDLER: 0
; COMPUTE_PGM_RSRC2:TGID_X_EN: 1
; COMPUTE_PGM_RSRC2:TGID_Y_EN: 0
; COMPUTE_PGM_RSRC2:TGID_Z_EN: 0
; COMPUTE_PGM_RSRC2:TIDIG_COMP_CNT: 0
; COMPUTE_PGM_RSRC3_GFX90A:ACCUM_OFFSET: 4
; COMPUTE_PGM_RSRC3_GFX90A:TG_SPLIT: 0
	.text
	.p2alignl 6, 3212836864
	.fill 256, 4, 3212836864
	.type	__hip_cuid_4515e77b8076a40f,@object ; @__hip_cuid_4515e77b8076a40f
	.section	.bss,"aw",@nobits
	.globl	__hip_cuid_4515e77b8076a40f
__hip_cuid_4515e77b8076a40f:
	.byte	0                               ; 0x0
	.size	__hip_cuid_4515e77b8076a40f, 1

	.ident	"AMD clang version 19.0.0git (https://github.com/RadeonOpenCompute/llvm-project roc-6.4.0 25133 c7fe45cf4b819c5991fe208aaa96edf142730f1d)"
	.section	".note.GNU-stack","",@progbits
	.addrsig
	.addrsig_sym __hip_cuid_4515e77b8076a40f
	.amdgpu_metadata
---
amdhsa.kernels:
  - .agpr_count:     0
    .args:
      - .offset:         0
        .size:           4
        .value_kind:     by_value
      - .offset:         4
        .size:           4
        .value_kind:     by_value
      - .offset:         8
        .size:           4
        .value_kind:     by_value
      - .actual_access:  read_only
        .address_space:  global
        .offset:         16
        .size:           8
        .value_kind:     global_buffer
      - .offset:         24
        .size:           8
        .value_kind:     by_value
      - .actual_access:  write_only
        .address_space:  global
        .offset:         32
        .size:           8
        .value_kind:     global_buffer
      - .offset:         40
        .size:           4
        .value_kind:     hidden_block_count_x
      - .offset:         44
        .size:           4
        .value_kind:     hidden_block_count_y
      - .offset:         48
        .size:           4
        .value_kind:     hidden_block_count_z
      - .offset:         52
        .size:           2
        .value_kind:     hidden_group_size_x
      - .offset:         54
        .size:           2
        .value_kind:     hidden_group_size_y
      - .offset:         56
        .size:           2
        .value_kind:     hidden_group_size_z
      - .offset:         58
        .size:           2
        .value_kind:     hidden_remainder_x
      - .offset:         60
        .size:           2
        .value_kind:     hidden_remainder_y
      - .offset:         62
        .size:           2
        .value_kind:     hidden_remainder_z
      - .offset:         80
        .size:           8
        .value_kind:     hidden_global_offset_x
      - .offset:         88
        .size:           8
        .value_kind:     hidden_global_offset_y
      - .offset:         96
        .size:           8
        .value_kind:     hidden_global_offset_z
      - .offset:         104
        .size:           2
        .value_kind:     hidden_grid_dims
    .group_segment_fixed_size: 16384
    .kernarg_segment_align: 8
    .kernarg_segment_size: 296
    .language:       OpenCL C
    .language_version:
      - 2
      - 0
    .max_flat_workgroup_size: 1024
    .name:           _ZN9rocsparseL14nnz_kernel_rowILi64ELi16EiiDF16_EEv16rocsparse_order_T2_S2_PKT3_lPT1_
    .private_segment_fixed_size: 0
    .sgpr_count:     38
    .sgpr_spill_count: 0
    .symbol:         _ZN9rocsparseL14nnz_kernel_rowILi64ELi16EiiDF16_EEv16rocsparse_order_T2_S2_PKT3_lPT1_.kd
    .uniform_work_group_size: 1
    .uses_dynamic_stack: false
    .vgpr_count:     35
    .vgpr_spill_count: 0
    .wavefront_size: 64
  - .agpr_count:     0
    .args:
      - .offset:         0
        .size:           4
        .value_kind:     by_value
      - .offset:         4
        .size:           4
        .value_kind:     by_value
      - .offset:         8
        .size:           4
        .value_kind:     by_value
      - .actual_access:  read_only
        .address_space:  global
        .offset:         16
        .size:           8
        .value_kind:     global_buffer
      - .offset:         24
        .size:           8
        .value_kind:     by_value
      - .actual_access:  write_only
        .address_space:  global
        .offset:         32
        .size:           8
        .value_kind:     global_buffer
    .group_segment_fixed_size: 1024
    .kernarg_segment_align: 8
    .kernarg_segment_size: 40
    .language:       OpenCL C
    .language_version:
      - 2
      - 0
    .max_flat_workgroup_size: 256
    .name:           _ZN9rocsparseL14nnz_kernel_colILi256EiiDF16_EEv16rocsparse_order_T1_S2_PKT2_lPT0_
    .private_segment_fixed_size: 0
    .sgpr_count:     26
    .sgpr_spill_count: 0
    .symbol:         _ZN9rocsparseL14nnz_kernel_colILi256EiiDF16_EEv16rocsparse_order_T1_S2_PKT2_lPT0_.kd
    .uniform_work_group_size: 1
    .uses_dynamic_stack: false
    .vgpr_count:     38
    .vgpr_spill_count: 0
    .wavefront_size: 64
  - .agpr_count:     0
    .args:
      - .offset:         0
        .size:           4
        .value_kind:     by_value
      - .offset:         4
        .size:           4
        .value_kind:     by_value
      - .offset:         8
        .size:           4
        .value_kind:     by_value
      - .actual_access:  read_only
        .address_space:  global
        .offset:         16
        .size:           8
        .value_kind:     global_buffer
      - .offset:         24
        .size:           8
        .value_kind:     by_value
      - .actual_access:  write_only
        .address_space:  global
        .offset:         32
        .size:           8
        .value_kind:     global_buffer
      - .offset:         40
        .size:           4
        .value_kind:     hidden_block_count_x
      - .offset:         44
        .size:           4
        .value_kind:     hidden_block_count_y
      - .offset:         48
        .size:           4
        .value_kind:     hidden_block_count_z
      - .offset:         52
        .size:           2
        .value_kind:     hidden_group_size_x
      - .offset:         54
        .size:           2
        .value_kind:     hidden_group_size_y
      - .offset:         56
        .size:           2
        .value_kind:     hidden_group_size_z
      - .offset:         58
        .size:           2
        .value_kind:     hidden_remainder_x
      - .offset:         60
        .size:           2
        .value_kind:     hidden_remainder_y
      - .offset:         62
        .size:           2
        .value_kind:     hidden_remainder_z
      - .offset:         80
        .size:           8
        .value_kind:     hidden_global_offset_x
      - .offset:         88
        .size:           8
        .value_kind:     hidden_global_offset_y
      - .offset:         96
        .size:           8
        .value_kind:     hidden_global_offset_z
      - .offset:         104
        .size:           2
        .value_kind:     hidden_grid_dims
    .group_segment_fixed_size: 16384
    .kernarg_segment_align: 8
    .kernarg_segment_size: 296
    .language:       OpenCL C
    .language_version:
      - 2
      - 0
    .max_flat_workgroup_size: 1024
    .name:           _ZN9rocsparseL14nnz_kernel_rowILi64ELi16Eii18rocsparse_bfloat16EEv16rocsparse_order_T2_S3_PKT3_lPT1_
    .private_segment_fixed_size: 0
    .sgpr_count:     39
    .sgpr_spill_count: 0
    .symbol:         _ZN9rocsparseL14nnz_kernel_rowILi64ELi16Eii18rocsparse_bfloat16EEv16rocsparse_order_T2_S3_PKT3_lPT1_.kd
    .uniform_work_group_size: 1
    .uses_dynamic_stack: false
    .vgpr_count:     38
    .vgpr_spill_count: 0
    .wavefront_size: 64
  - .agpr_count:     0
    .args:
      - .offset:         0
        .size:           4
        .value_kind:     by_value
      - .offset:         4
        .size:           4
        .value_kind:     by_value
      - .offset:         8
        .size:           4
        .value_kind:     by_value
      - .actual_access:  read_only
        .address_space:  global
        .offset:         16
        .size:           8
        .value_kind:     global_buffer
      - .offset:         24
        .size:           8
        .value_kind:     by_value
      - .actual_access:  write_only
        .address_space:  global
        .offset:         32
        .size:           8
        .value_kind:     global_buffer
    .group_segment_fixed_size: 1024
    .kernarg_segment_align: 8
    .kernarg_segment_size: 40
    .language:       OpenCL C
    .language_version:
      - 2
      - 0
    .max_flat_workgroup_size: 256
    .name:           _ZN9rocsparseL14nnz_kernel_colILi256Eii18rocsparse_bfloat16EEv16rocsparse_order_T1_S3_PKT2_lPT0_
    .private_segment_fixed_size: 0
    .sgpr_count:     28
    .sgpr_spill_count: 0
    .symbol:         _ZN9rocsparseL14nnz_kernel_colILi256Eii18rocsparse_bfloat16EEv16rocsparse_order_T1_S3_PKT2_lPT0_.kd
    .uniform_work_group_size: 1
    .uses_dynamic_stack: false
    .vgpr_count:     38
    .vgpr_spill_count: 0
    .wavefront_size: 64
  - .agpr_count:     0
    .args:
      - .offset:         0
        .size:           4
        .value_kind:     by_value
      - .offset:         4
        .size:           4
        .value_kind:     by_value
      - .offset:         8
        .size:           4
        .value_kind:     by_value
      - .actual_access:  read_only
        .address_space:  global
        .offset:         16
        .size:           8
        .value_kind:     global_buffer
      - .offset:         24
        .size:           8
        .value_kind:     by_value
      - .actual_access:  write_only
        .address_space:  global
        .offset:         32
        .size:           8
        .value_kind:     global_buffer
      - .offset:         40
        .size:           4
        .value_kind:     hidden_block_count_x
      - .offset:         44
        .size:           4
        .value_kind:     hidden_block_count_y
      - .offset:         48
        .size:           4
        .value_kind:     hidden_block_count_z
      - .offset:         52
        .size:           2
        .value_kind:     hidden_group_size_x
      - .offset:         54
        .size:           2
        .value_kind:     hidden_group_size_y
      - .offset:         56
        .size:           2
        .value_kind:     hidden_group_size_z
      - .offset:         58
        .size:           2
        .value_kind:     hidden_remainder_x
      - .offset:         60
        .size:           2
        .value_kind:     hidden_remainder_y
      - .offset:         62
        .size:           2
        .value_kind:     hidden_remainder_z
      - .offset:         80
        .size:           8
        .value_kind:     hidden_global_offset_x
      - .offset:         88
        .size:           8
        .value_kind:     hidden_global_offset_y
      - .offset:         96
        .size:           8
        .value_kind:     hidden_global_offset_z
      - .offset:         104
        .size:           2
        .value_kind:     hidden_grid_dims
    .group_segment_fixed_size: 16384
    .kernarg_segment_align: 8
    .kernarg_segment_size: 296
    .language:       OpenCL C
    .language_version:
      - 2
      - 0
    .max_flat_workgroup_size: 1024
    .name:           _ZN9rocsparseL14nnz_kernel_rowILi64ELi16EiifEEv16rocsparse_order_T2_S2_PKT3_lPT1_
    .private_segment_fixed_size: 0
    .sgpr_count:     38
    .sgpr_spill_count: 0
    .symbol:         _ZN9rocsparseL14nnz_kernel_rowILi64ELi16EiifEEv16rocsparse_order_T2_S2_PKT3_lPT1_.kd
    .uniform_work_group_size: 1
    .uses_dynamic_stack: false
    .vgpr_count:     34
    .vgpr_spill_count: 0
    .wavefront_size: 64
  - .agpr_count:     0
    .args:
      - .offset:         0
        .size:           4
        .value_kind:     by_value
      - .offset:         4
        .size:           4
        .value_kind:     by_value
      - .offset:         8
        .size:           4
        .value_kind:     by_value
      - .actual_access:  read_only
        .address_space:  global
        .offset:         16
        .size:           8
        .value_kind:     global_buffer
      - .offset:         24
        .size:           8
        .value_kind:     by_value
      - .actual_access:  write_only
        .address_space:  global
        .offset:         32
        .size:           8
        .value_kind:     global_buffer
    .group_segment_fixed_size: 1024
    .kernarg_segment_align: 8
    .kernarg_segment_size: 40
    .language:       OpenCL C
    .language_version:
      - 2
      - 0
    .max_flat_workgroup_size: 256
    .name:           _ZN9rocsparseL14nnz_kernel_colILi256EiifEEv16rocsparse_order_T1_S2_PKT2_lPT0_
    .private_segment_fixed_size: 0
    .sgpr_count:     26
    .sgpr_spill_count: 0
    .symbol:         _ZN9rocsparseL14nnz_kernel_colILi256EiifEEv16rocsparse_order_T1_S2_PKT2_lPT0_.kd
    .uniform_work_group_size: 1
    .uses_dynamic_stack: false
    .vgpr_count:     38
    .vgpr_spill_count: 0
    .wavefront_size: 64
  - .agpr_count:     0
    .args:
      - .offset:         0
        .size:           4
        .value_kind:     by_value
      - .offset:         4
        .size:           4
        .value_kind:     by_value
      - .offset:         8
        .size:           4
        .value_kind:     by_value
      - .actual_access:  read_only
        .address_space:  global
        .offset:         16
        .size:           8
        .value_kind:     global_buffer
      - .offset:         24
        .size:           8
        .value_kind:     by_value
      - .actual_access:  write_only
        .address_space:  global
        .offset:         32
        .size:           8
        .value_kind:     global_buffer
      - .offset:         40
        .size:           4
        .value_kind:     hidden_block_count_x
      - .offset:         44
        .size:           4
        .value_kind:     hidden_block_count_y
      - .offset:         48
        .size:           4
        .value_kind:     hidden_block_count_z
      - .offset:         52
        .size:           2
        .value_kind:     hidden_group_size_x
      - .offset:         54
        .size:           2
        .value_kind:     hidden_group_size_y
      - .offset:         56
        .size:           2
        .value_kind:     hidden_group_size_z
      - .offset:         58
        .size:           2
        .value_kind:     hidden_remainder_x
      - .offset:         60
        .size:           2
        .value_kind:     hidden_remainder_y
      - .offset:         62
        .size:           2
        .value_kind:     hidden_remainder_z
      - .offset:         80
        .size:           8
        .value_kind:     hidden_global_offset_x
      - .offset:         88
        .size:           8
        .value_kind:     hidden_global_offset_y
      - .offset:         96
        .size:           8
        .value_kind:     hidden_global_offset_z
      - .offset:         104
        .size:           2
        .value_kind:     hidden_grid_dims
    .group_segment_fixed_size: 16384
    .kernarg_segment_align: 8
    .kernarg_segment_size: 296
    .language:       OpenCL C
    .language_version:
      - 2
      - 0
    .max_flat_workgroup_size: 1024
    .name:           _ZN9rocsparseL14nnz_kernel_rowILi64ELi16EiidEEv16rocsparse_order_T2_S2_PKT3_lPT1_
    .private_segment_fixed_size: 0
    .sgpr_count:     38
    .sgpr_spill_count: 0
    .symbol:         _ZN9rocsparseL14nnz_kernel_rowILi64ELi16EiidEEv16rocsparse_order_T2_S2_PKT3_lPT1_.kd
    .uniform_work_group_size: 1
    .uses_dynamic_stack: false
    .vgpr_count:     38
    .vgpr_spill_count: 0
    .wavefront_size: 64
  - .agpr_count:     0
    .args:
      - .offset:         0
        .size:           4
        .value_kind:     by_value
      - .offset:         4
        .size:           4
        .value_kind:     by_value
      - .offset:         8
        .size:           4
        .value_kind:     by_value
      - .actual_access:  read_only
        .address_space:  global
        .offset:         16
        .size:           8
        .value_kind:     global_buffer
      - .offset:         24
        .size:           8
        .value_kind:     by_value
      - .actual_access:  write_only
        .address_space:  global
        .offset:         32
        .size:           8
        .value_kind:     global_buffer
    .group_segment_fixed_size: 1024
    .kernarg_segment_align: 8
    .kernarg_segment_size: 40
    .language:       OpenCL C
    .language_version:
      - 2
      - 0
    .max_flat_workgroup_size: 256
    .name:           _ZN9rocsparseL14nnz_kernel_colILi256EiidEEv16rocsparse_order_T1_S2_PKT2_lPT0_
    .private_segment_fixed_size: 0
    .sgpr_count:     24
    .sgpr_spill_count: 0
    .symbol:         _ZN9rocsparseL14nnz_kernel_colILi256EiidEEv16rocsparse_order_T1_S2_PKT2_lPT0_.kd
    .uniform_work_group_size: 1
    .uses_dynamic_stack: false
    .vgpr_count:     38
    .vgpr_spill_count: 0
    .wavefront_size: 64
  - .agpr_count:     0
    .args:
      - .offset:         0
        .size:           4
        .value_kind:     by_value
      - .offset:         4
        .size:           4
        .value_kind:     by_value
      - .offset:         8
        .size:           4
        .value_kind:     by_value
      - .actual_access:  read_only
        .address_space:  global
        .offset:         16
        .size:           8
        .value_kind:     global_buffer
      - .offset:         24
        .size:           8
        .value_kind:     by_value
      - .actual_access:  write_only
        .address_space:  global
        .offset:         32
        .size:           8
        .value_kind:     global_buffer
      - .offset:         40
        .size:           4
        .value_kind:     hidden_block_count_x
      - .offset:         44
        .size:           4
        .value_kind:     hidden_block_count_y
      - .offset:         48
        .size:           4
        .value_kind:     hidden_block_count_z
      - .offset:         52
        .size:           2
        .value_kind:     hidden_group_size_x
      - .offset:         54
        .size:           2
        .value_kind:     hidden_group_size_y
      - .offset:         56
        .size:           2
        .value_kind:     hidden_group_size_z
      - .offset:         58
        .size:           2
        .value_kind:     hidden_remainder_x
      - .offset:         60
        .size:           2
        .value_kind:     hidden_remainder_y
      - .offset:         62
        .size:           2
        .value_kind:     hidden_remainder_z
      - .offset:         80
        .size:           8
        .value_kind:     hidden_global_offset_x
      - .offset:         88
        .size:           8
        .value_kind:     hidden_global_offset_y
      - .offset:         96
        .size:           8
        .value_kind:     hidden_global_offset_z
      - .offset:         104
        .size:           2
        .value_kind:     hidden_grid_dims
    .group_segment_fixed_size: 16384
    .kernarg_segment_align: 8
    .kernarg_segment_size: 296
    .language:       OpenCL C
    .language_version:
      - 2
      - 0
    .max_flat_workgroup_size: 1024
    .name:           _ZN9rocsparseL14nnz_kernel_rowILi64ELi16Eii21rocsparse_complex_numIfEEEv16rocsparse_order_T2_S4_PKT3_lPT1_
    .private_segment_fixed_size: 0
    .sgpr_count:     50
    .sgpr_spill_count: 0
    .symbol:         _ZN9rocsparseL14nnz_kernel_rowILi64ELi16Eii21rocsparse_complex_numIfEEEv16rocsparse_order_T2_S4_PKT3_lPT1_.kd
    .uniform_work_group_size: 1
    .uses_dynamic_stack: false
    .vgpr_count:     39
    .vgpr_spill_count: 0
    .wavefront_size: 64
  - .agpr_count:     0
    .args:
      - .offset:         0
        .size:           4
        .value_kind:     by_value
      - .offset:         4
        .size:           4
        .value_kind:     by_value
      - .offset:         8
        .size:           4
        .value_kind:     by_value
      - .actual_access:  read_only
        .address_space:  global
        .offset:         16
        .size:           8
        .value_kind:     global_buffer
      - .offset:         24
        .size:           8
        .value_kind:     by_value
      - .actual_access:  write_only
        .address_space:  global
        .offset:         32
        .size:           8
        .value_kind:     global_buffer
    .group_segment_fixed_size: 1024
    .kernarg_segment_align: 8
    .kernarg_segment_size: 40
    .language:       OpenCL C
    .language_version:
      - 2
      - 0
    .max_flat_workgroup_size: 256
    .name:           _ZN9rocsparseL14nnz_kernel_colILi256Eii21rocsparse_complex_numIfEEEv16rocsparse_order_T1_S4_PKT2_lPT0_
    .private_segment_fixed_size: 0
    .sgpr_count:     28
    .sgpr_spill_count: 0
    .symbol:         _ZN9rocsparseL14nnz_kernel_colILi256Eii21rocsparse_complex_numIfEEEv16rocsparse_order_T1_S4_PKT2_lPT0_.kd
    .uniform_work_group_size: 1
    .uses_dynamic_stack: false
    .vgpr_count:     38
    .vgpr_spill_count: 0
    .wavefront_size: 64
  - .agpr_count:     0
    .args:
      - .offset:         0
        .size:           4
        .value_kind:     by_value
      - .offset:         4
        .size:           4
        .value_kind:     by_value
      - .offset:         8
        .size:           4
        .value_kind:     by_value
      - .actual_access:  read_only
        .address_space:  global
        .offset:         16
        .size:           8
        .value_kind:     global_buffer
      - .offset:         24
        .size:           8
        .value_kind:     by_value
      - .actual_access:  write_only
        .address_space:  global
        .offset:         32
        .size:           8
        .value_kind:     global_buffer
      - .offset:         40
        .size:           4
        .value_kind:     hidden_block_count_x
      - .offset:         44
        .size:           4
        .value_kind:     hidden_block_count_y
      - .offset:         48
        .size:           4
        .value_kind:     hidden_block_count_z
      - .offset:         52
        .size:           2
        .value_kind:     hidden_group_size_x
      - .offset:         54
        .size:           2
        .value_kind:     hidden_group_size_y
      - .offset:         56
        .size:           2
        .value_kind:     hidden_group_size_z
      - .offset:         58
        .size:           2
        .value_kind:     hidden_remainder_x
      - .offset:         60
        .size:           2
        .value_kind:     hidden_remainder_y
      - .offset:         62
        .size:           2
        .value_kind:     hidden_remainder_z
      - .offset:         80
        .size:           8
        .value_kind:     hidden_global_offset_x
      - .offset:         88
        .size:           8
        .value_kind:     hidden_global_offset_y
      - .offset:         96
        .size:           8
        .value_kind:     hidden_global_offset_z
      - .offset:         104
        .size:           2
        .value_kind:     hidden_grid_dims
    .group_segment_fixed_size: 16384
    .kernarg_segment_align: 8
    .kernarg_segment_size: 296
    .language:       OpenCL C
    .language_version:
      - 2
      - 0
    .max_flat_workgroup_size: 1024
    .name:           _ZN9rocsparseL14nnz_kernel_rowILi64ELi16Eii21rocsparse_complex_numIdEEEv16rocsparse_order_T2_S4_PKT3_lPT1_
    .private_segment_fixed_size: 0
    .sgpr_count:     50
    .sgpr_spill_count: 0
    .symbol:         _ZN9rocsparseL14nnz_kernel_rowILi64ELi16Eii21rocsparse_complex_numIdEEEv16rocsparse_order_T2_S4_PKT3_lPT1_.kd
    .uniform_work_group_size: 1
    .uses_dynamic_stack: false
    .vgpr_count:     46
    .vgpr_spill_count: 0
    .wavefront_size: 64
  - .agpr_count:     0
    .args:
      - .offset:         0
        .size:           4
        .value_kind:     by_value
      - .offset:         4
        .size:           4
        .value_kind:     by_value
      - .offset:         8
        .size:           4
        .value_kind:     by_value
      - .actual_access:  read_only
        .address_space:  global
        .offset:         16
        .size:           8
        .value_kind:     global_buffer
      - .offset:         24
        .size:           8
        .value_kind:     by_value
      - .actual_access:  write_only
        .address_space:  global
        .offset:         32
        .size:           8
        .value_kind:     global_buffer
    .group_segment_fixed_size: 1024
    .kernarg_segment_align: 8
    .kernarg_segment_size: 40
    .language:       OpenCL C
    .language_version:
      - 2
      - 0
    .max_flat_workgroup_size: 256
    .name:           _ZN9rocsparseL14nnz_kernel_colILi256Eii21rocsparse_complex_numIdEEEv16rocsparse_order_T1_S4_PKT2_lPT0_
    .private_segment_fixed_size: 0
    .sgpr_count:     24
    .sgpr_spill_count: 0
    .symbol:         _ZN9rocsparseL14nnz_kernel_colILi256Eii21rocsparse_complex_numIdEEEv16rocsparse_order_T1_S4_PKT2_lPT0_.kd
    .uniform_work_group_size: 1
    .uses_dynamic_stack: false
    .vgpr_count:     38
    .vgpr_spill_count: 0
    .wavefront_size: 64
  - .agpr_count:     0
    .args:
      - .offset:         0
        .size:           4
        .value_kind:     by_value
      - .offset:         4
        .size:           4
        .value_kind:     by_value
      - .offset:         8
        .size:           4
        .value_kind:     by_value
      - .actual_access:  read_only
        .address_space:  global
        .offset:         16
        .size:           8
        .value_kind:     global_buffer
      - .offset:         24
        .size:           8
        .value_kind:     by_value
      - .actual_access:  write_only
        .address_space:  global
        .offset:         32
        .size:           8
        .value_kind:     global_buffer
      - .offset:         40
        .size:           4
        .value_kind:     hidden_block_count_x
      - .offset:         44
        .size:           4
        .value_kind:     hidden_block_count_y
      - .offset:         48
        .size:           4
        .value_kind:     hidden_block_count_z
      - .offset:         52
        .size:           2
        .value_kind:     hidden_group_size_x
      - .offset:         54
        .size:           2
        .value_kind:     hidden_group_size_y
      - .offset:         56
        .size:           2
        .value_kind:     hidden_group_size_z
      - .offset:         58
        .size:           2
        .value_kind:     hidden_remainder_x
      - .offset:         60
        .size:           2
        .value_kind:     hidden_remainder_y
      - .offset:         62
        .size:           2
        .value_kind:     hidden_remainder_z
      - .offset:         80
        .size:           8
        .value_kind:     hidden_global_offset_x
      - .offset:         88
        .size:           8
        .value_kind:     hidden_global_offset_y
      - .offset:         96
        .size:           8
        .value_kind:     hidden_global_offset_z
      - .offset:         104
        .size:           2
        .value_kind:     hidden_grid_dims
    .group_segment_fixed_size: 32768
    .kernarg_segment_align: 8
    .kernarg_segment_size: 296
    .language:       OpenCL C
    .language_version:
      - 2
      - 0
    .max_flat_workgroup_size: 1024
    .name:           _ZN9rocsparseL14nnz_kernel_rowILi64ELi16Eli18rocsparse_bfloat16EEv16rocsparse_order_T2_S3_PKT3_lPT1_
    .private_segment_fixed_size: 0
    .sgpr_count:     42
    .sgpr_spill_count: 0
    .symbol:         _ZN9rocsparseL14nnz_kernel_rowILi64ELi16Eli18rocsparse_bfloat16EEv16rocsparse_order_T2_S3_PKT3_lPT1_.kd
    .uniform_work_group_size: 1
    .uses_dynamic_stack: false
    .vgpr_count:     42
    .vgpr_spill_count: 0
    .wavefront_size: 64
  - .agpr_count:     0
    .args:
      - .offset:         0
        .size:           4
        .value_kind:     by_value
      - .offset:         4
        .size:           4
        .value_kind:     by_value
      - .offset:         8
        .size:           4
        .value_kind:     by_value
      - .actual_access:  read_only
        .address_space:  global
        .offset:         16
        .size:           8
        .value_kind:     global_buffer
      - .offset:         24
        .size:           8
        .value_kind:     by_value
      - .actual_access:  write_only
        .address_space:  global
        .offset:         32
        .size:           8
        .value_kind:     global_buffer
    .group_segment_fixed_size: 2048
    .kernarg_segment_align: 8
    .kernarg_segment_size: 40
    .language:       OpenCL C
    .language_version:
      - 2
      - 0
    .max_flat_workgroup_size: 256
    .name:           _ZN9rocsparseL14nnz_kernel_colILi256Eli18rocsparse_bfloat16EEv16rocsparse_order_T1_S3_PKT2_lPT0_
    .private_segment_fixed_size: 0
    .sgpr_count:     24
    .sgpr_spill_count: 0
    .symbol:         _ZN9rocsparseL14nnz_kernel_colILi256Eli18rocsparse_bfloat16EEv16rocsparse_order_T1_S3_PKT2_lPT0_.kd
    .uniform_work_group_size: 1
    .uses_dynamic_stack: false
    .vgpr_count:     20
    .vgpr_spill_count: 0
    .wavefront_size: 64
  - .agpr_count:     0
    .args:
      - .offset:         0
        .size:           4
        .value_kind:     by_value
      - .offset:         4
        .size:           4
        .value_kind:     by_value
      - .offset:         8
        .size:           4
        .value_kind:     by_value
      - .actual_access:  read_only
        .address_space:  global
        .offset:         16
        .size:           8
        .value_kind:     global_buffer
      - .offset:         24
        .size:           8
        .value_kind:     by_value
      - .actual_access:  write_only
        .address_space:  global
        .offset:         32
        .size:           8
        .value_kind:     global_buffer
      - .offset:         40
        .size:           4
        .value_kind:     hidden_block_count_x
      - .offset:         44
        .size:           4
        .value_kind:     hidden_block_count_y
      - .offset:         48
        .size:           4
        .value_kind:     hidden_block_count_z
      - .offset:         52
        .size:           2
        .value_kind:     hidden_group_size_x
      - .offset:         54
        .size:           2
        .value_kind:     hidden_group_size_y
      - .offset:         56
        .size:           2
        .value_kind:     hidden_group_size_z
      - .offset:         58
        .size:           2
        .value_kind:     hidden_remainder_x
      - .offset:         60
        .size:           2
        .value_kind:     hidden_remainder_y
      - .offset:         62
        .size:           2
        .value_kind:     hidden_remainder_z
      - .offset:         80
        .size:           8
        .value_kind:     hidden_global_offset_x
      - .offset:         88
        .size:           8
        .value_kind:     hidden_global_offset_y
      - .offset:         96
        .size:           8
        .value_kind:     hidden_global_offset_z
      - .offset:         104
        .size:           2
        .value_kind:     hidden_grid_dims
    .group_segment_fixed_size: 32768
    .kernarg_segment_align: 8
    .kernarg_segment_size: 296
    .language:       OpenCL C
    .language_version:
      - 2
      - 0
    .max_flat_workgroup_size: 1024
    .name:           _ZN9rocsparseL14nnz_kernel_rowILi64ELi16EliDF16_EEv16rocsparse_order_T2_S2_PKT3_lPT1_
    .private_segment_fixed_size: 0
    .sgpr_count:     42
    .sgpr_spill_count: 0
    .symbol:         _ZN9rocsparseL14nnz_kernel_rowILi64ELi16EliDF16_EEv16rocsparse_order_T2_S2_PKT3_lPT1_.kd
    .uniform_work_group_size: 1
    .uses_dynamic_stack: false
    .vgpr_count:     42
    .vgpr_spill_count: 0
    .wavefront_size: 64
  - .agpr_count:     0
    .args:
      - .offset:         0
        .size:           4
        .value_kind:     by_value
      - .offset:         4
        .size:           4
        .value_kind:     by_value
      - .offset:         8
        .size:           4
        .value_kind:     by_value
      - .actual_access:  read_only
        .address_space:  global
        .offset:         16
        .size:           8
        .value_kind:     global_buffer
      - .offset:         24
        .size:           8
        .value_kind:     by_value
      - .actual_access:  write_only
        .address_space:  global
        .offset:         32
        .size:           8
        .value_kind:     global_buffer
    .group_segment_fixed_size: 2048
    .kernarg_segment_align: 8
    .kernarg_segment_size: 40
    .language:       OpenCL C
    .language_version:
      - 2
      - 0
    .max_flat_workgroup_size: 256
    .name:           _ZN9rocsparseL14nnz_kernel_colILi256EliDF16_EEv16rocsparse_order_T1_S2_PKT2_lPT0_
    .private_segment_fixed_size: 0
    .sgpr_count:     24
    .sgpr_spill_count: 0
    .symbol:         _ZN9rocsparseL14nnz_kernel_colILi256EliDF16_EEv16rocsparse_order_T1_S2_PKT2_lPT0_.kd
    .uniform_work_group_size: 1
    .uses_dynamic_stack: false
    .vgpr_count:     20
    .vgpr_spill_count: 0
    .wavefront_size: 64
  - .agpr_count:     0
    .args:
      - .offset:         0
        .size:           4
        .value_kind:     by_value
      - .offset:         4
        .size:           4
        .value_kind:     by_value
      - .offset:         8
        .size:           4
        .value_kind:     by_value
      - .actual_access:  read_only
        .address_space:  global
        .offset:         16
        .size:           8
        .value_kind:     global_buffer
      - .offset:         24
        .size:           8
        .value_kind:     by_value
      - .actual_access:  write_only
        .address_space:  global
        .offset:         32
        .size:           8
        .value_kind:     global_buffer
      - .offset:         40
        .size:           4
        .value_kind:     hidden_block_count_x
      - .offset:         44
        .size:           4
        .value_kind:     hidden_block_count_y
      - .offset:         48
        .size:           4
        .value_kind:     hidden_block_count_z
      - .offset:         52
        .size:           2
        .value_kind:     hidden_group_size_x
      - .offset:         54
        .size:           2
        .value_kind:     hidden_group_size_y
      - .offset:         56
        .size:           2
        .value_kind:     hidden_group_size_z
      - .offset:         58
        .size:           2
        .value_kind:     hidden_remainder_x
      - .offset:         60
        .size:           2
        .value_kind:     hidden_remainder_y
      - .offset:         62
        .size:           2
        .value_kind:     hidden_remainder_z
      - .offset:         80
        .size:           8
        .value_kind:     hidden_global_offset_x
      - .offset:         88
        .size:           8
        .value_kind:     hidden_global_offset_y
      - .offset:         96
        .size:           8
        .value_kind:     hidden_global_offset_z
      - .offset:         104
        .size:           2
        .value_kind:     hidden_grid_dims
    .group_segment_fixed_size: 32768
    .kernarg_segment_align: 8
    .kernarg_segment_size: 296
    .language:       OpenCL C
    .language_version:
      - 2
      - 0
    .max_flat_workgroup_size: 1024
    .name:           _ZN9rocsparseL14nnz_kernel_rowILi64ELi16ElifEEv16rocsparse_order_T2_S2_PKT3_lPT1_
    .private_segment_fixed_size: 0
    .sgpr_count:     42
    .sgpr_spill_count: 0
    .symbol:         _ZN9rocsparseL14nnz_kernel_rowILi64ELi16ElifEEv16rocsparse_order_T2_S2_PKT3_lPT1_.kd
    .uniform_work_group_size: 1
    .uses_dynamic_stack: false
    .vgpr_count:     42
    .vgpr_spill_count: 0
    .wavefront_size: 64
  - .agpr_count:     0
    .args:
      - .offset:         0
        .size:           4
        .value_kind:     by_value
      - .offset:         4
        .size:           4
        .value_kind:     by_value
      - .offset:         8
        .size:           4
        .value_kind:     by_value
      - .actual_access:  read_only
        .address_space:  global
        .offset:         16
        .size:           8
        .value_kind:     global_buffer
      - .offset:         24
        .size:           8
        .value_kind:     by_value
      - .actual_access:  write_only
        .address_space:  global
        .offset:         32
        .size:           8
        .value_kind:     global_buffer
    .group_segment_fixed_size: 2048
    .kernarg_segment_align: 8
    .kernarg_segment_size: 40
    .language:       OpenCL C
    .language_version:
      - 2
      - 0
    .max_flat_workgroup_size: 256
    .name:           _ZN9rocsparseL14nnz_kernel_colILi256ElifEEv16rocsparse_order_T1_S2_PKT2_lPT0_
    .private_segment_fixed_size: 0
    .sgpr_count:     24
    .sgpr_spill_count: 0
    .symbol:         _ZN9rocsparseL14nnz_kernel_colILi256ElifEEv16rocsparse_order_T1_S2_PKT2_lPT0_.kd
    .uniform_work_group_size: 1
    .uses_dynamic_stack: false
    .vgpr_count:     20
    .vgpr_spill_count: 0
    .wavefront_size: 64
  - .agpr_count:     0
    .args:
      - .offset:         0
        .size:           4
        .value_kind:     by_value
      - .offset:         4
        .size:           4
        .value_kind:     by_value
      - .offset:         8
        .size:           4
        .value_kind:     by_value
      - .actual_access:  read_only
        .address_space:  global
        .offset:         16
        .size:           8
        .value_kind:     global_buffer
      - .offset:         24
        .size:           8
        .value_kind:     by_value
      - .actual_access:  write_only
        .address_space:  global
        .offset:         32
        .size:           8
        .value_kind:     global_buffer
      - .offset:         40
        .size:           4
        .value_kind:     hidden_block_count_x
      - .offset:         44
        .size:           4
        .value_kind:     hidden_block_count_y
      - .offset:         48
        .size:           4
        .value_kind:     hidden_block_count_z
      - .offset:         52
        .size:           2
        .value_kind:     hidden_group_size_x
      - .offset:         54
        .size:           2
        .value_kind:     hidden_group_size_y
      - .offset:         56
        .size:           2
        .value_kind:     hidden_group_size_z
      - .offset:         58
        .size:           2
        .value_kind:     hidden_remainder_x
      - .offset:         60
        .size:           2
        .value_kind:     hidden_remainder_y
      - .offset:         62
        .size:           2
        .value_kind:     hidden_remainder_z
      - .offset:         80
        .size:           8
        .value_kind:     hidden_global_offset_x
      - .offset:         88
        .size:           8
        .value_kind:     hidden_global_offset_y
      - .offset:         96
        .size:           8
        .value_kind:     hidden_global_offset_z
      - .offset:         104
        .size:           2
        .value_kind:     hidden_grid_dims
    .group_segment_fixed_size: 32768
    .kernarg_segment_align: 8
    .kernarg_segment_size: 296
    .language:       OpenCL C
    .language_version:
      - 2
      - 0
    .max_flat_workgroup_size: 1024
    .name:           _ZN9rocsparseL14nnz_kernel_rowILi64ELi16ElidEEv16rocsparse_order_T2_S2_PKT3_lPT1_
    .private_segment_fixed_size: 0
    .sgpr_count:     42
    .sgpr_spill_count: 0
    .symbol:         _ZN9rocsparseL14nnz_kernel_rowILi64ELi16ElidEEv16rocsparse_order_T2_S2_PKT3_lPT1_.kd
    .uniform_work_group_size: 1
    .uses_dynamic_stack: false
    .vgpr_count:     46
    .vgpr_spill_count: 0
    .wavefront_size: 64
  - .agpr_count:     0
    .args:
      - .offset:         0
        .size:           4
        .value_kind:     by_value
      - .offset:         4
        .size:           4
        .value_kind:     by_value
      - .offset:         8
        .size:           4
        .value_kind:     by_value
      - .actual_access:  read_only
        .address_space:  global
        .offset:         16
        .size:           8
        .value_kind:     global_buffer
      - .offset:         24
        .size:           8
        .value_kind:     by_value
      - .actual_access:  write_only
        .address_space:  global
        .offset:         32
        .size:           8
        .value_kind:     global_buffer
    .group_segment_fixed_size: 2048
    .kernarg_segment_align: 8
    .kernarg_segment_size: 40
    .language:       OpenCL C
    .language_version:
      - 2
      - 0
    .max_flat_workgroup_size: 256
    .name:           _ZN9rocsparseL14nnz_kernel_colILi256ElidEEv16rocsparse_order_T1_S2_PKT2_lPT0_
    .private_segment_fixed_size: 0
    .sgpr_count:     24
    .sgpr_spill_count: 0
    .symbol:         _ZN9rocsparseL14nnz_kernel_colILi256ElidEEv16rocsparse_order_T1_S2_PKT2_lPT0_.kd
    .uniform_work_group_size: 1
    .uses_dynamic_stack: false
    .vgpr_count:     20
    .vgpr_spill_count: 0
    .wavefront_size: 64
  - .agpr_count:     0
    .args:
      - .offset:         0
        .size:           4
        .value_kind:     by_value
      - .offset:         4
        .size:           4
        .value_kind:     by_value
      - .offset:         8
        .size:           4
        .value_kind:     by_value
      - .actual_access:  read_only
        .address_space:  global
        .offset:         16
        .size:           8
        .value_kind:     global_buffer
      - .offset:         24
        .size:           8
        .value_kind:     by_value
      - .actual_access:  write_only
        .address_space:  global
        .offset:         32
        .size:           8
        .value_kind:     global_buffer
      - .offset:         40
        .size:           4
        .value_kind:     hidden_block_count_x
      - .offset:         44
        .size:           4
        .value_kind:     hidden_block_count_y
      - .offset:         48
        .size:           4
        .value_kind:     hidden_block_count_z
      - .offset:         52
        .size:           2
        .value_kind:     hidden_group_size_x
      - .offset:         54
        .size:           2
        .value_kind:     hidden_group_size_y
      - .offset:         56
        .size:           2
        .value_kind:     hidden_group_size_z
      - .offset:         58
        .size:           2
        .value_kind:     hidden_remainder_x
      - .offset:         60
        .size:           2
        .value_kind:     hidden_remainder_y
      - .offset:         62
        .size:           2
        .value_kind:     hidden_remainder_z
      - .offset:         80
        .size:           8
        .value_kind:     hidden_global_offset_x
      - .offset:         88
        .size:           8
        .value_kind:     hidden_global_offset_y
      - .offset:         96
        .size:           8
        .value_kind:     hidden_global_offset_z
      - .offset:         104
        .size:           2
        .value_kind:     hidden_grid_dims
    .group_segment_fixed_size: 32768
    .kernarg_segment_align: 8
    .kernarg_segment_size: 296
    .language:       OpenCL C
    .language_version:
      - 2
      - 0
    .max_flat_workgroup_size: 1024
    .name:           _ZN9rocsparseL14nnz_kernel_rowILi64ELi16Eli21rocsparse_complex_numIfEEEv16rocsparse_order_T2_S4_PKT3_lPT1_
    .private_segment_fixed_size: 0
    .sgpr_count:     50
    .sgpr_spill_count: 0
    .symbol:         _ZN9rocsparseL14nnz_kernel_rowILi64ELi16Eli21rocsparse_complex_numIfEEEv16rocsparse_order_T2_S4_PKT3_lPT1_.kd
    .uniform_work_group_size: 1
    .uses_dynamic_stack: false
    .vgpr_count:     46
    .vgpr_spill_count: 0
    .wavefront_size: 64
  - .agpr_count:     0
    .args:
      - .offset:         0
        .size:           4
        .value_kind:     by_value
      - .offset:         4
        .size:           4
        .value_kind:     by_value
      - .offset:         8
        .size:           4
        .value_kind:     by_value
      - .actual_access:  read_only
        .address_space:  global
        .offset:         16
        .size:           8
        .value_kind:     global_buffer
      - .offset:         24
        .size:           8
        .value_kind:     by_value
      - .actual_access:  write_only
        .address_space:  global
        .offset:         32
        .size:           8
        .value_kind:     global_buffer
    .group_segment_fixed_size: 2048
    .kernarg_segment_align: 8
    .kernarg_segment_size: 40
    .language:       OpenCL C
    .language_version:
      - 2
      - 0
    .max_flat_workgroup_size: 256
    .name:           _ZN9rocsparseL14nnz_kernel_colILi256Eli21rocsparse_complex_numIfEEEv16rocsparse_order_T1_S4_PKT2_lPT0_
    .private_segment_fixed_size: 0
    .sgpr_count:     24
    .sgpr_spill_count: 0
    .symbol:         _ZN9rocsparseL14nnz_kernel_colILi256Eli21rocsparse_complex_numIfEEEv16rocsparse_order_T1_S4_PKT2_lPT0_.kd
    .uniform_work_group_size: 1
    .uses_dynamic_stack: false
    .vgpr_count:     20
    .vgpr_spill_count: 0
    .wavefront_size: 64
  - .agpr_count:     0
    .args:
      - .offset:         0
        .size:           4
        .value_kind:     by_value
      - .offset:         4
        .size:           4
        .value_kind:     by_value
      - .offset:         8
        .size:           4
        .value_kind:     by_value
      - .actual_access:  read_only
        .address_space:  global
        .offset:         16
        .size:           8
        .value_kind:     global_buffer
      - .offset:         24
        .size:           8
        .value_kind:     by_value
      - .actual_access:  write_only
        .address_space:  global
        .offset:         32
        .size:           8
        .value_kind:     global_buffer
      - .offset:         40
        .size:           4
        .value_kind:     hidden_block_count_x
      - .offset:         44
        .size:           4
        .value_kind:     hidden_block_count_y
      - .offset:         48
        .size:           4
        .value_kind:     hidden_block_count_z
      - .offset:         52
        .size:           2
        .value_kind:     hidden_group_size_x
      - .offset:         54
        .size:           2
        .value_kind:     hidden_group_size_y
      - .offset:         56
        .size:           2
        .value_kind:     hidden_group_size_z
      - .offset:         58
        .size:           2
        .value_kind:     hidden_remainder_x
      - .offset:         60
        .size:           2
        .value_kind:     hidden_remainder_y
      - .offset:         62
        .size:           2
        .value_kind:     hidden_remainder_z
      - .offset:         80
        .size:           8
        .value_kind:     hidden_global_offset_x
      - .offset:         88
        .size:           8
        .value_kind:     hidden_global_offset_y
      - .offset:         96
        .size:           8
        .value_kind:     hidden_global_offset_z
      - .offset:         104
        .size:           2
        .value_kind:     hidden_grid_dims
    .group_segment_fixed_size: 32768
    .kernarg_segment_align: 8
    .kernarg_segment_size: 296
    .language:       OpenCL C
    .language_version:
      - 2
      - 0
    .max_flat_workgroup_size: 1024
    .name:           _ZN9rocsparseL14nnz_kernel_rowILi64ELi16Eli21rocsparse_complex_numIdEEEv16rocsparse_order_T2_S4_PKT3_lPT1_
    .private_segment_fixed_size: 0
    .sgpr_count:     50
    .sgpr_spill_count: 0
    .symbol:         _ZN9rocsparseL14nnz_kernel_rowILi64ELi16Eli21rocsparse_complex_numIdEEEv16rocsparse_order_T2_S4_PKT3_lPT1_.kd
    .uniform_work_group_size: 1
    .uses_dynamic_stack: false
    .vgpr_count:     54
    .vgpr_spill_count: 0
    .wavefront_size: 64
  - .agpr_count:     0
    .args:
      - .offset:         0
        .size:           4
        .value_kind:     by_value
      - .offset:         4
        .size:           4
        .value_kind:     by_value
      - .offset:         8
        .size:           4
        .value_kind:     by_value
      - .actual_access:  read_only
        .address_space:  global
        .offset:         16
        .size:           8
        .value_kind:     global_buffer
      - .offset:         24
        .size:           8
        .value_kind:     by_value
      - .actual_access:  write_only
        .address_space:  global
        .offset:         32
        .size:           8
        .value_kind:     global_buffer
    .group_segment_fixed_size: 2048
    .kernarg_segment_align: 8
    .kernarg_segment_size: 40
    .language:       OpenCL C
    .language_version:
      - 2
      - 0
    .max_flat_workgroup_size: 256
    .name:           _ZN9rocsparseL14nnz_kernel_colILi256Eli21rocsparse_complex_numIdEEEv16rocsparse_order_T1_S4_PKT2_lPT0_
    .private_segment_fixed_size: 0
    .sgpr_count:     24
    .sgpr_spill_count: 0
    .symbol:         _ZN9rocsparseL14nnz_kernel_colILi256Eli21rocsparse_complex_numIdEEEv16rocsparse_order_T1_S4_PKT2_lPT0_.kd
    .uniform_work_group_size: 1
    .uses_dynamic_stack: false
    .vgpr_count:     20
    .vgpr_spill_count: 0
    .wavefront_size: 64
  - .agpr_count:     0
    .args:
      - .offset:         0
        .size:           4
        .value_kind:     by_value
      - .offset:         8
        .size:           8
        .value_kind:     by_value
      - .offset:         16
        .size:           8
        .value_kind:     by_value
      - .actual_access:  read_only
        .address_space:  global
        .offset:         24
        .size:           8
        .value_kind:     global_buffer
      - .offset:         32
        .size:           8
        .value_kind:     by_value
      - .actual_access:  write_only
        .address_space:  global
        .offset:         40
        .size:           8
        .value_kind:     global_buffer
      - .offset:         48
        .size:           4
        .value_kind:     hidden_block_count_x
      - .offset:         52
        .size:           4
        .value_kind:     hidden_block_count_y
      - .offset:         56
        .size:           4
        .value_kind:     hidden_block_count_z
      - .offset:         60
        .size:           2
        .value_kind:     hidden_group_size_x
      - .offset:         62
        .size:           2
        .value_kind:     hidden_group_size_y
      - .offset:         64
        .size:           2
        .value_kind:     hidden_group_size_z
      - .offset:         66
        .size:           2
        .value_kind:     hidden_remainder_x
      - .offset:         68
        .size:           2
        .value_kind:     hidden_remainder_y
      - .offset:         70
        .size:           2
        .value_kind:     hidden_remainder_z
      - .offset:         88
        .size:           8
        .value_kind:     hidden_global_offset_x
      - .offset:         96
        .size:           8
        .value_kind:     hidden_global_offset_y
      - .offset:         104
        .size:           8
        .value_kind:     hidden_global_offset_z
      - .offset:         112
        .size:           2
        .value_kind:     hidden_grid_dims
    .group_segment_fixed_size: 32768
    .kernarg_segment_align: 8
    .kernarg_segment_size: 304
    .language:       OpenCL C
    .language_version:
      - 2
      - 0
    .max_flat_workgroup_size: 1024
    .name:           _ZN9rocsparseL14nnz_kernel_rowILi64ELi16Ell18rocsparse_bfloat16EEv16rocsparse_order_T2_S3_PKT3_lPT1_
    .private_segment_fixed_size: 0
    .sgpr_count:     47
    .sgpr_spill_count: 0
    .symbol:         _ZN9rocsparseL14nnz_kernel_rowILi64ELi16Ell18rocsparse_bfloat16EEv16rocsparse_order_T2_S3_PKT3_lPT1_.kd
    .uniform_work_group_size: 1
    .uses_dynamic_stack: false
    .vgpr_count:     44
    .vgpr_spill_count: 0
    .wavefront_size: 64
  - .agpr_count:     0
    .args:
      - .offset:         0
        .size:           4
        .value_kind:     by_value
      - .offset:         8
        .size:           8
        .value_kind:     by_value
      - .offset:         16
        .size:           8
        .value_kind:     by_value
      - .actual_access:  read_only
        .address_space:  global
        .offset:         24
        .size:           8
        .value_kind:     global_buffer
      - .offset:         32
        .size:           8
        .value_kind:     by_value
      - .actual_access:  write_only
        .address_space:  global
        .offset:         40
        .size:           8
        .value_kind:     global_buffer
    .group_segment_fixed_size: 2048
    .kernarg_segment_align: 8
    .kernarg_segment_size: 48
    .language:       OpenCL C
    .language_version:
      - 2
      - 0
    .max_flat_workgroup_size: 256
    .name:           _ZN9rocsparseL14nnz_kernel_colILi256Ell18rocsparse_bfloat16EEv16rocsparse_order_T1_S3_PKT2_lPT0_
    .private_segment_fixed_size: 0
    .sgpr_count:     24
    .sgpr_spill_count: 0
    .symbol:         _ZN9rocsparseL14nnz_kernel_colILi256Ell18rocsparse_bfloat16EEv16rocsparse_order_T1_S3_PKT2_lPT0_.kd
    .uniform_work_group_size: 1
    .uses_dynamic_stack: false
    .vgpr_count:     20
    .vgpr_spill_count: 0
    .wavefront_size: 64
  - .agpr_count:     0
    .args:
      - .offset:         0
        .size:           4
        .value_kind:     by_value
      - .offset:         8
        .size:           8
        .value_kind:     by_value
      - .offset:         16
        .size:           8
        .value_kind:     by_value
      - .actual_access:  read_only
        .address_space:  global
        .offset:         24
        .size:           8
        .value_kind:     global_buffer
      - .offset:         32
        .size:           8
        .value_kind:     by_value
      - .actual_access:  write_only
        .address_space:  global
        .offset:         40
        .size:           8
        .value_kind:     global_buffer
      - .offset:         48
        .size:           4
        .value_kind:     hidden_block_count_x
      - .offset:         52
        .size:           4
        .value_kind:     hidden_block_count_y
      - .offset:         56
        .size:           4
        .value_kind:     hidden_block_count_z
      - .offset:         60
        .size:           2
        .value_kind:     hidden_group_size_x
      - .offset:         62
        .size:           2
        .value_kind:     hidden_group_size_y
      - .offset:         64
        .size:           2
        .value_kind:     hidden_group_size_z
      - .offset:         66
        .size:           2
        .value_kind:     hidden_remainder_x
      - .offset:         68
        .size:           2
        .value_kind:     hidden_remainder_y
      - .offset:         70
        .size:           2
        .value_kind:     hidden_remainder_z
      - .offset:         88
        .size:           8
        .value_kind:     hidden_global_offset_x
      - .offset:         96
        .size:           8
        .value_kind:     hidden_global_offset_y
      - .offset:         104
        .size:           8
        .value_kind:     hidden_global_offset_z
      - .offset:         112
        .size:           2
        .value_kind:     hidden_grid_dims
    .group_segment_fixed_size: 32768
    .kernarg_segment_align: 8
    .kernarg_segment_size: 304
    .language:       OpenCL C
    .language_version:
      - 2
      - 0
    .max_flat_workgroup_size: 1024
    .name:           _ZN9rocsparseL14nnz_kernel_rowILi64ELi16EllDF16_EEv16rocsparse_order_T2_S2_PKT3_lPT1_
    .private_segment_fixed_size: 0
    .sgpr_count:     47
    .sgpr_spill_count: 0
    .symbol:         _ZN9rocsparseL14nnz_kernel_rowILi64ELi16EllDF16_EEv16rocsparse_order_T2_S2_PKT3_lPT1_.kd
    .uniform_work_group_size: 1
    .uses_dynamic_stack: false
    .vgpr_count:     43
    .vgpr_spill_count: 0
    .wavefront_size: 64
  - .agpr_count:     0
    .args:
      - .offset:         0
        .size:           4
        .value_kind:     by_value
      - .offset:         8
        .size:           8
        .value_kind:     by_value
      - .offset:         16
        .size:           8
        .value_kind:     by_value
      - .actual_access:  read_only
        .address_space:  global
        .offset:         24
        .size:           8
        .value_kind:     global_buffer
      - .offset:         32
        .size:           8
        .value_kind:     by_value
      - .actual_access:  write_only
        .address_space:  global
        .offset:         40
        .size:           8
        .value_kind:     global_buffer
    .group_segment_fixed_size: 2048
    .kernarg_segment_align: 8
    .kernarg_segment_size: 48
    .language:       OpenCL C
    .language_version:
      - 2
      - 0
    .max_flat_workgroup_size: 256
    .name:           _ZN9rocsparseL14nnz_kernel_colILi256EllDF16_EEv16rocsparse_order_T1_S2_PKT2_lPT0_
    .private_segment_fixed_size: 0
    .sgpr_count:     24
    .sgpr_spill_count: 0
    .symbol:         _ZN9rocsparseL14nnz_kernel_colILi256EllDF16_EEv16rocsparse_order_T1_S2_PKT2_lPT0_.kd
    .uniform_work_group_size: 1
    .uses_dynamic_stack: false
    .vgpr_count:     20
    .vgpr_spill_count: 0
    .wavefront_size: 64
  - .agpr_count:     0
    .args:
      - .offset:         0
        .size:           4
        .value_kind:     by_value
      - .offset:         8
        .size:           8
        .value_kind:     by_value
      - .offset:         16
        .size:           8
        .value_kind:     by_value
      - .actual_access:  read_only
        .address_space:  global
        .offset:         24
        .size:           8
        .value_kind:     global_buffer
      - .offset:         32
        .size:           8
        .value_kind:     by_value
      - .actual_access:  write_only
        .address_space:  global
        .offset:         40
        .size:           8
        .value_kind:     global_buffer
      - .offset:         48
        .size:           4
        .value_kind:     hidden_block_count_x
      - .offset:         52
        .size:           4
        .value_kind:     hidden_block_count_y
      - .offset:         56
        .size:           4
        .value_kind:     hidden_block_count_z
      - .offset:         60
        .size:           2
        .value_kind:     hidden_group_size_x
      - .offset:         62
        .size:           2
        .value_kind:     hidden_group_size_y
      - .offset:         64
        .size:           2
        .value_kind:     hidden_group_size_z
      - .offset:         66
        .size:           2
        .value_kind:     hidden_remainder_x
      - .offset:         68
        .size:           2
        .value_kind:     hidden_remainder_y
      - .offset:         70
        .size:           2
        .value_kind:     hidden_remainder_z
      - .offset:         88
        .size:           8
        .value_kind:     hidden_global_offset_x
      - .offset:         96
        .size:           8
        .value_kind:     hidden_global_offset_y
      - .offset:         104
        .size:           8
        .value_kind:     hidden_global_offset_z
      - .offset:         112
        .size:           2
        .value_kind:     hidden_grid_dims
    .group_segment_fixed_size: 32768
    .kernarg_segment_align: 8
    .kernarg_segment_size: 304
    .language:       OpenCL C
    .language_version:
      - 2
      - 0
    .max_flat_workgroup_size: 1024
    .name:           _ZN9rocsparseL14nnz_kernel_rowILi64ELi16EllfEEv16rocsparse_order_T2_S2_PKT3_lPT1_
    .private_segment_fixed_size: 0
    .sgpr_count:     47
    .sgpr_spill_count: 0
    .symbol:         _ZN9rocsparseL14nnz_kernel_rowILi64ELi16EllfEEv16rocsparse_order_T2_S2_PKT3_lPT1_.kd
    .uniform_work_group_size: 1
    .uses_dynamic_stack: false
    .vgpr_count:     44
    .vgpr_spill_count: 0
    .wavefront_size: 64
  - .agpr_count:     0
    .args:
      - .offset:         0
        .size:           4
        .value_kind:     by_value
      - .offset:         8
        .size:           8
        .value_kind:     by_value
      - .offset:         16
        .size:           8
        .value_kind:     by_value
      - .actual_access:  read_only
        .address_space:  global
        .offset:         24
        .size:           8
        .value_kind:     global_buffer
      - .offset:         32
        .size:           8
        .value_kind:     by_value
      - .actual_access:  write_only
        .address_space:  global
        .offset:         40
        .size:           8
        .value_kind:     global_buffer
    .group_segment_fixed_size: 2048
    .kernarg_segment_align: 8
    .kernarg_segment_size: 48
    .language:       OpenCL C
    .language_version:
      - 2
      - 0
    .max_flat_workgroup_size: 256
    .name:           _ZN9rocsparseL14nnz_kernel_colILi256EllfEEv16rocsparse_order_T1_S2_PKT2_lPT0_
    .private_segment_fixed_size: 0
    .sgpr_count:     24
    .sgpr_spill_count: 0
    .symbol:         _ZN9rocsparseL14nnz_kernel_colILi256EllfEEv16rocsparse_order_T1_S2_PKT2_lPT0_.kd
    .uniform_work_group_size: 1
    .uses_dynamic_stack: false
    .vgpr_count:     20
    .vgpr_spill_count: 0
    .wavefront_size: 64
  - .agpr_count:     0
    .args:
      - .offset:         0
        .size:           4
        .value_kind:     by_value
      - .offset:         8
        .size:           8
        .value_kind:     by_value
      - .offset:         16
        .size:           8
        .value_kind:     by_value
      - .actual_access:  read_only
        .address_space:  global
        .offset:         24
        .size:           8
        .value_kind:     global_buffer
      - .offset:         32
        .size:           8
        .value_kind:     by_value
      - .actual_access:  write_only
        .address_space:  global
        .offset:         40
        .size:           8
        .value_kind:     global_buffer
      - .offset:         48
        .size:           4
        .value_kind:     hidden_block_count_x
      - .offset:         52
        .size:           4
        .value_kind:     hidden_block_count_y
      - .offset:         56
        .size:           4
        .value_kind:     hidden_block_count_z
      - .offset:         60
        .size:           2
        .value_kind:     hidden_group_size_x
      - .offset:         62
        .size:           2
        .value_kind:     hidden_group_size_y
      - .offset:         64
        .size:           2
        .value_kind:     hidden_group_size_z
      - .offset:         66
        .size:           2
        .value_kind:     hidden_remainder_x
      - .offset:         68
        .size:           2
        .value_kind:     hidden_remainder_y
      - .offset:         70
        .size:           2
        .value_kind:     hidden_remainder_z
      - .offset:         88
        .size:           8
        .value_kind:     hidden_global_offset_x
      - .offset:         96
        .size:           8
        .value_kind:     hidden_global_offset_y
      - .offset:         104
        .size:           8
        .value_kind:     hidden_global_offset_z
      - .offset:         112
        .size:           2
        .value_kind:     hidden_grid_dims
    .group_segment_fixed_size: 32768
    .kernarg_segment_align: 8
    .kernarg_segment_size: 304
    .language:       OpenCL C
    .language_version:
      - 2
      - 0
    .max_flat_workgroup_size: 1024
    .name:           _ZN9rocsparseL14nnz_kernel_rowILi64ELi16ElldEEv16rocsparse_order_T2_S2_PKT3_lPT1_
    .private_segment_fixed_size: 0
    .sgpr_count:     47
    .sgpr_spill_count: 0
    .symbol:         _ZN9rocsparseL14nnz_kernel_rowILi64ELi16ElldEEv16rocsparse_order_T2_S2_PKT3_lPT1_.kd
    .uniform_work_group_size: 1
    .uses_dynamic_stack: false
    .vgpr_count:     48
    .vgpr_spill_count: 0
    .wavefront_size: 64
  - .agpr_count:     0
    .args:
      - .offset:         0
        .size:           4
        .value_kind:     by_value
      - .offset:         8
        .size:           8
        .value_kind:     by_value
      - .offset:         16
        .size:           8
        .value_kind:     by_value
      - .actual_access:  read_only
        .address_space:  global
        .offset:         24
        .size:           8
        .value_kind:     global_buffer
      - .offset:         32
        .size:           8
        .value_kind:     by_value
      - .actual_access:  write_only
        .address_space:  global
        .offset:         40
        .size:           8
        .value_kind:     global_buffer
    .group_segment_fixed_size: 2048
    .kernarg_segment_align: 8
    .kernarg_segment_size: 48
    .language:       OpenCL C
    .language_version:
      - 2
      - 0
    .max_flat_workgroup_size: 256
    .name:           _ZN9rocsparseL14nnz_kernel_colILi256ElldEEv16rocsparse_order_T1_S2_PKT2_lPT0_
    .private_segment_fixed_size: 0
    .sgpr_count:     24
    .sgpr_spill_count: 0
    .symbol:         _ZN9rocsparseL14nnz_kernel_colILi256ElldEEv16rocsparse_order_T1_S2_PKT2_lPT0_.kd
    .uniform_work_group_size: 1
    .uses_dynamic_stack: false
    .vgpr_count:     20
    .vgpr_spill_count: 0
    .wavefront_size: 64
  - .agpr_count:     0
    .args:
      - .offset:         0
        .size:           4
        .value_kind:     by_value
      - .offset:         8
        .size:           8
        .value_kind:     by_value
      - .offset:         16
        .size:           8
        .value_kind:     by_value
      - .actual_access:  read_only
        .address_space:  global
        .offset:         24
        .size:           8
        .value_kind:     global_buffer
      - .offset:         32
        .size:           8
        .value_kind:     by_value
      - .actual_access:  write_only
        .address_space:  global
        .offset:         40
        .size:           8
        .value_kind:     global_buffer
      - .offset:         48
        .size:           4
        .value_kind:     hidden_block_count_x
      - .offset:         52
        .size:           4
        .value_kind:     hidden_block_count_y
      - .offset:         56
        .size:           4
        .value_kind:     hidden_block_count_z
      - .offset:         60
        .size:           2
        .value_kind:     hidden_group_size_x
      - .offset:         62
        .size:           2
        .value_kind:     hidden_group_size_y
      - .offset:         64
        .size:           2
        .value_kind:     hidden_group_size_z
      - .offset:         66
        .size:           2
        .value_kind:     hidden_remainder_x
      - .offset:         68
        .size:           2
        .value_kind:     hidden_remainder_y
      - .offset:         70
        .size:           2
        .value_kind:     hidden_remainder_z
      - .offset:         88
        .size:           8
        .value_kind:     hidden_global_offset_x
      - .offset:         96
        .size:           8
        .value_kind:     hidden_global_offset_y
      - .offset:         104
        .size:           8
        .value_kind:     hidden_global_offset_z
      - .offset:         112
        .size:           2
        .value_kind:     hidden_grid_dims
    .group_segment_fixed_size: 32768
    .kernarg_segment_align: 8
    .kernarg_segment_size: 304
    .language:       OpenCL C
    .language_version:
      - 2
      - 0
    .max_flat_workgroup_size: 1024
    .name:           _ZN9rocsparseL14nnz_kernel_rowILi64ELi16Ell21rocsparse_complex_numIfEEEv16rocsparse_order_T2_S4_PKT3_lPT1_
    .private_segment_fixed_size: 0
    .sgpr_count:     55
    .sgpr_spill_count: 0
    .symbol:         _ZN9rocsparseL14nnz_kernel_rowILi64ELi16Ell21rocsparse_complex_numIfEEEv16rocsparse_order_T2_S4_PKT3_lPT1_.kd
    .uniform_work_group_size: 1
    .uses_dynamic_stack: false
    .vgpr_count:     48
    .vgpr_spill_count: 0
    .wavefront_size: 64
  - .agpr_count:     0
    .args:
      - .offset:         0
        .size:           4
        .value_kind:     by_value
      - .offset:         8
        .size:           8
        .value_kind:     by_value
      - .offset:         16
        .size:           8
        .value_kind:     by_value
      - .actual_access:  read_only
        .address_space:  global
        .offset:         24
        .size:           8
        .value_kind:     global_buffer
      - .offset:         32
        .size:           8
        .value_kind:     by_value
      - .actual_access:  write_only
        .address_space:  global
        .offset:         40
        .size:           8
        .value_kind:     global_buffer
    .group_segment_fixed_size: 2048
    .kernarg_segment_align: 8
    .kernarg_segment_size: 48
    .language:       OpenCL C
    .language_version:
      - 2
      - 0
    .max_flat_workgroup_size: 256
    .name:           _ZN9rocsparseL14nnz_kernel_colILi256Ell21rocsparse_complex_numIfEEEv16rocsparse_order_T1_S4_PKT2_lPT0_
    .private_segment_fixed_size: 0
    .sgpr_count:     24
    .sgpr_spill_count: 0
    .symbol:         _ZN9rocsparseL14nnz_kernel_colILi256Ell21rocsparse_complex_numIfEEEv16rocsparse_order_T1_S4_PKT2_lPT0_.kd
    .uniform_work_group_size: 1
    .uses_dynamic_stack: false
    .vgpr_count:     20
    .vgpr_spill_count: 0
    .wavefront_size: 64
  - .agpr_count:     0
    .args:
      - .offset:         0
        .size:           4
        .value_kind:     by_value
      - .offset:         8
        .size:           8
        .value_kind:     by_value
      - .offset:         16
        .size:           8
        .value_kind:     by_value
      - .actual_access:  read_only
        .address_space:  global
        .offset:         24
        .size:           8
        .value_kind:     global_buffer
      - .offset:         32
        .size:           8
        .value_kind:     by_value
      - .actual_access:  write_only
        .address_space:  global
        .offset:         40
        .size:           8
        .value_kind:     global_buffer
      - .offset:         48
        .size:           4
        .value_kind:     hidden_block_count_x
      - .offset:         52
        .size:           4
        .value_kind:     hidden_block_count_y
      - .offset:         56
        .size:           4
        .value_kind:     hidden_block_count_z
      - .offset:         60
        .size:           2
        .value_kind:     hidden_group_size_x
      - .offset:         62
        .size:           2
        .value_kind:     hidden_group_size_y
      - .offset:         64
        .size:           2
        .value_kind:     hidden_group_size_z
      - .offset:         66
        .size:           2
        .value_kind:     hidden_remainder_x
      - .offset:         68
        .size:           2
        .value_kind:     hidden_remainder_y
      - .offset:         70
        .size:           2
        .value_kind:     hidden_remainder_z
      - .offset:         88
        .size:           8
        .value_kind:     hidden_global_offset_x
      - .offset:         96
        .size:           8
        .value_kind:     hidden_global_offset_y
      - .offset:         104
        .size:           8
        .value_kind:     hidden_global_offset_z
      - .offset:         112
        .size:           2
        .value_kind:     hidden_grid_dims
    .group_segment_fixed_size: 32768
    .kernarg_segment_align: 8
    .kernarg_segment_size: 304
    .language:       OpenCL C
    .language_version:
      - 2
      - 0
    .max_flat_workgroup_size: 1024
    .name:           _ZN9rocsparseL14nnz_kernel_rowILi64ELi16Ell21rocsparse_complex_numIdEEEv16rocsparse_order_T2_S4_PKT3_lPT1_
    .private_segment_fixed_size: 0
    .sgpr_count:     55
    .sgpr_spill_count: 0
    .symbol:         _ZN9rocsparseL14nnz_kernel_rowILi64ELi16Ell21rocsparse_complex_numIdEEEv16rocsparse_order_T2_S4_PKT3_lPT1_.kd
    .uniform_work_group_size: 1
    .uses_dynamic_stack: false
    .vgpr_count:     56
    .vgpr_spill_count: 0
    .wavefront_size: 64
  - .agpr_count:     0
    .args:
      - .offset:         0
        .size:           4
        .value_kind:     by_value
      - .offset:         8
        .size:           8
        .value_kind:     by_value
      - .offset:         16
        .size:           8
        .value_kind:     by_value
      - .actual_access:  read_only
        .address_space:  global
        .offset:         24
        .size:           8
        .value_kind:     global_buffer
      - .offset:         32
        .size:           8
        .value_kind:     by_value
      - .actual_access:  write_only
        .address_space:  global
        .offset:         40
        .size:           8
        .value_kind:     global_buffer
    .group_segment_fixed_size: 2048
    .kernarg_segment_align: 8
    .kernarg_segment_size: 48
    .language:       OpenCL C
    .language_version:
      - 2
      - 0
    .max_flat_workgroup_size: 256
    .name:           _ZN9rocsparseL14nnz_kernel_colILi256Ell21rocsparse_complex_numIdEEEv16rocsparse_order_T1_S4_PKT2_lPT0_
    .private_segment_fixed_size: 0
    .sgpr_count:     24
    .sgpr_spill_count: 0
    .symbol:         _ZN9rocsparseL14nnz_kernel_colILi256Ell21rocsparse_complex_numIdEEEv16rocsparse_order_T1_S4_PKT2_lPT0_.kd
    .uniform_work_group_size: 1
    .uses_dynamic_stack: false
    .vgpr_count:     20
    .vgpr_spill_count: 0
    .wavefront_size: 64
amdhsa.target:   amdgcn-amd-amdhsa--gfx90a
amdhsa.version:
  - 1
  - 2
...

	.end_amdgpu_metadata
